;; amdgpu-corpus repo=ROCm/rocFFT kind=compiled arch=gfx950 opt=O3
	.text
	.amdgcn_target "amdgcn-amd-amdhsa--gfx950"
	.amdhsa_code_object_version 6
	.protected	fft_rtc_back_len858_factors_13_11_6_wgs_234_tpt_78_halfLds_sp_ip_CI_sbrr_dirReg ; -- Begin function fft_rtc_back_len858_factors_13_11_6_wgs_234_tpt_78_halfLds_sp_ip_CI_sbrr_dirReg
	.globl	fft_rtc_back_len858_factors_13_11_6_wgs_234_tpt_78_halfLds_sp_ip_CI_sbrr_dirReg
	.p2align	8
	.type	fft_rtc_back_len858_factors_13_11_6_wgs_234_tpt_78_halfLds_sp_ip_CI_sbrr_dirReg,@function
fft_rtc_back_len858_factors_13_11_6_wgs_234_tpt_78_halfLds_sp_ip_CI_sbrr_dirReg: ; @fft_rtc_back_len858_factors_13_11_6_wgs_234_tpt_78_halfLds_sp_ip_CI_sbrr_dirReg
; %bb.0:
	s_load_dwordx2 s[12:13], s[0:1], 0x18
	s_load_dwordx4 s[4:7], s[0:1], 0x0
	s_load_dwordx2 s[10:11], s[0:1], 0x50
	v_mul_u32_u24_e32 v1, 0x349, v0
	v_lshrrev_b32_e32 v2, 16, v1
	s_waitcnt lgkmcnt(0)
	s_load_dwordx2 s[8:9], s[12:13], 0x0
	v_mad_u64_u32 v[2:3], s[2:3], s2, 3, v[2:3]
	v_mov_b32_e32 v6, 0
	v_mov_b32_e32 v3, v6
	v_cmp_lt_u64_e64 s[2:3], s[6:7], 2
	s_and_b64 vcc, exec, s[2:3]
	v_mov_b64_e32 v[4:5], 0
	v_mov_b64_e32 v[10:11], v[2:3]
	s_cbranch_vccnz .LBB0_8
; %bb.1:
	s_load_dwordx2 s[2:3], s[0:1], 0x10
	s_add_u32 s14, s12, 8
	s_addc_u32 s15, s13, 0
	s_mov_b64 s[16:17], 1
	v_mov_b64_e32 v[4:5], 0
	s_waitcnt lgkmcnt(0)
	s_add_u32 s18, s2, 8
	s_addc_u32 s19, s3, 0
	v_mov_b64_e32 v[8:9], v[2:3]
.LBB0_2:                                ; =>This Inner Loop Header: Depth=1
	s_load_dwordx2 s[20:21], s[18:19], 0x0
                                        ; implicit-def: $vgpr10_vgpr11
	s_waitcnt lgkmcnt(0)
	v_or_b32_e32 v7, s21, v9
	v_cmp_ne_u64_e32 vcc, 0, v[6:7]
	s_and_saveexec_b64 s[2:3], vcc
	s_xor_b64 s[22:23], exec, s[2:3]
	s_cbranch_execz .LBB0_4
; %bb.3:                                ;   in Loop: Header=BB0_2 Depth=1
	v_cvt_f32_u32_e32 v1, s20
	v_cvt_f32_u32_e32 v3, s21
	s_sub_u32 s2, 0, s20
	s_subb_u32 s3, 0, s21
	v_fmac_f32_e32 v1, 0x4f800000, v3
	v_rcp_f32_e32 v1, v1
	s_nop 0
	v_mul_f32_e32 v1, 0x5f7ffffc, v1
	v_mul_f32_e32 v3, 0x2f800000, v1
	v_trunc_f32_e32 v3, v3
	v_fmac_f32_e32 v1, 0xcf800000, v3
	v_cvt_u32_f32_e32 v3, v3
	v_cvt_u32_f32_e32 v1, v1
	v_mul_lo_u32 v7, s2, v3
	v_mul_hi_u32 v10, s2, v1
	v_mul_lo_u32 v11, s3, v1
	v_add_u32_e32 v7, v10, v7
	v_mul_lo_u32 v14, s2, v1
	v_add_u32_e32 v7, v7, v11
	v_mul_hi_u32 v10, v1, v14
	v_mul_hi_u32 v13, v1, v7
	v_mul_lo_u32 v12, v1, v7
	v_mov_b32_e32 v11, v6
	v_lshl_add_u64 v[10:11], v[10:11], 0, v[12:13]
	v_mul_hi_u32 v13, v3, v14
	v_mul_lo_u32 v14, v3, v14
	v_add_co_u32_e32 v10, vcc, v10, v14
	v_mul_hi_u32 v12, v3, v7
	s_nop 0
	v_addc_co_u32_e32 v10, vcc, v11, v13, vcc
	v_mov_b32_e32 v11, v6
	s_nop 0
	v_addc_co_u32_e32 v13, vcc, 0, v12, vcc
	v_mul_lo_u32 v12, v3, v7
	v_lshl_add_u64 v[10:11], v[10:11], 0, v[12:13]
	v_add_co_u32_e32 v1, vcc, v1, v10
	v_mul_hi_u32 v10, s2, v1
	s_nop 0
	v_addc_co_u32_e32 v3, vcc, v3, v11, vcc
	v_mul_lo_u32 v7, s2, v3
	v_add_u32_e32 v7, v10, v7
	v_mul_lo_u32 v10, s3, v1
	v_add_u32_e32 v7, v7, v10
	v_mul_lo_u32 v12, s2, v1
	v_mul_hi_u32 v15, v3, v12
	v_mul_lo_u32 v16, v3, v12
	v_mul_hi_u32 v11, v1, v7
	;; [unrolled: 2-line block ×3, first 2 shown]
	v_mov_b32_e32 v13, v6
	v_lshl_add_u64 v[10:11], v[12:13], 0, v[10:11]
	v_add_co_u32_e32 v10, vcc, v10, v16
	v_mul_hi_u32 v14, v3, v7
	s_nop 0
	v_addc_co_u32_e32 v10, vcc, v11, v15, vcc
	v_mul_lo_u32 v12, v3, v7
	s_nop 0
	v_addc_co_u32_e32 v13, vcc, 0, v14, vcc
	v_mov_b32_e32 v11, v6
	v_lshl_add_u64 v[10:11], v[10:11], 0, v[12:13]
	v_add_co_u32_e32 v1, vcc, v1, v10
	v_mul_hi_u32 v12, v8, v1
	s_nop 0
	v_addc_co_u32_e32 v3, vcc, v3, v11, vcc
	v_mad_u64_u32 v[10:11], s[2:3], v8, v3, 0
	v_mov_b32_e32 v13, v6
	v_lshl_add_u64 v[10:11], v[12:13], 0, v[10:11]
	v_mad_u64_u32 v[14:15], s[2:3], v9, v1, 0
	v_add_co_u32_e32 v1, vcc, v10, v14
	v_mad_u64_u32 v[12:13], s[2:3], v9, v3, 0
	s_nop 0
	v_addc_co_u32_e32 v10, vcc, v11, v15, vcc
	v_mov_b32_e32 v11, v6
	s_nop 0
	v_addc_co_u32_e32 v13, vcc, 0, v13, vcc
	v_lshl_add_u64 v[10:11], v[10:11], 0, v[12:13]
	v_mul_lo_u32 v1, s21, v10
	v_mul_lo_u32 v3, s20, v11
	v_mad_u64_u32 v[12:13], s[2:3], s20, v10, 0
	v_add3_u32 v1, v13, v3, v1
	v_sub_u32_e32 v3, v9, v1
	v_mov_b32_e32 v7, s21
	v_sub_co_u32_e32 v16, vcc, v8, v12
	v_lshl_add_u64 v[14:15], v[10:11], 0, 1
	s_nop 0
	v_subb_co_u32_e64 v3, s[2:3], v3, v7, vcc
	v_subrev_co_u32_e64 v7, s[2:3], s20, v16
	v_subb_co_u32_e32 v1, vcc, v9, v1, vcc
	s_nop 0
	v_subbrev_co_u32_e64 v3, s[2:3], 0, v3, s[2:3]
	v_cmp_le_u32_e64 s[2:3], s21, v3
	v_cmp_le_u32_e32 vcc, s21, v1
	s_nop 0
	v_cndmask_b32_e64 v12, 0, -1, s[2:3]
	v_cmp_le_u32_e64 s[2:3], s20, v7
	s_nop 1
	v_cndmask_b32_e64 v7, 0, -1, s[2:3]
	v_cmp_eq_u32_e64 s[2:3], s21, v3
	s_nop 1
	v_cndmask_b32_e64 v3, v12, v7, s[2:3]
	v_lshl_add_u64 v[12:13], v[10:11], 0, 2
	v_cmp_ne_u32_e64 s[2:3], 0, v3
	v_cndmask_b32_e64 v7, 0, -1, vcc
	v_cmp_le_u32_e32 vcc, s20, v16
	v_cndmask_b32_e64 v3, v15, v13, s[2:3]
	s_nop 0
	v_cndmask_b32_e64 v13, 0, -1, vcc
	v_cmp_eq_u32_e32 vcc, s21, v1
	s_nop 1
	v_cndmask_b32_e32 v1, v7, v13, vcc
	v_cmp_ne_u32_e32 vcc, 0, v1
	v_cndmask_b32_e64 v1, v14, v12, s[2:3]
	s_nop 0
	v_cndmask_b32_e32 v11, v11, v3, vcc
	v_cndmask_b32_e32 v10, v10, v1, vcc
.LBB0_4:                                ;   in Loop: Header=BB0_2 Depth=1
	s_andn2_saveexec_b64 s[2:3], s[22:23]
	s_cbranch_execz .LBB0_6
; %bb.5:                                ;   in Loop: Header=BB0_2 Depth=1
	v_cvt_f32_u32_e32 v1, s20
	s_sub_i32 s22, 0, s20
	v_mov_b32_e32 v11, v6
	v_rcp_iflag_f32_e32 v1, v1
	s_nop 0
	v_mul_f32_e32 v1, 0x4f7ffffe, v1
	v_cvt_u32_f32_e32 v1, v1
	v_mul_lo_u32 v3, s22, v1
	v_mul_hi_u32 v3, v1, v3
	v_add_u32_e32 v1, v1, v3
	v_mul_hi_u32 v1, v8, v1
	v_mul_lo_u32 v3, v1, s20
	v_sub_u32_e32 v3, v8, v3
	v_add_u32_e32 v7, 1, v1
	v_subrev_u32_e32 v10, s20, v3
	v_cmp_le_u32_e32 vcc, s20, v3
	s_nop 1
	v_cndmask_b32_e32 v3, v3, v10, vcc
	v_cndmask_b32_e32 v1, v1, v7, vcc
	v_add_u32_e32 v7, 1, v1
	v_cmp_le_u32_e32 vcc, s20, v3
	s_nop 1
	v_cndmask_b32_e32 v10, v1, v7, vcc
.LBB0_6:                                ;   in Loop: Header=BB0_2 Depth=1
	s_or_b64 exec, exec, s[2:3]
	v_mad_u64_u32 v[12:13], s[2:3], v10, s20, 0
	s_load_dwordx2 s[2:3], s[14:15], 0x0
	s_add_u32 s16, s16, 1
	v_mul_lo_u32 v1, v11, s20
	v_mul_lo_u32 v3, v10, s21
	s_addc_u32 s17, s17, 0
	v_add3_u32 v1, v13, v3, v1
	v_sub_co_u32_e32 v3, vcc, v8, v12
	s_add_u32 s14, s14, 8
	s_nop 0
	v_subb_co_u32_e32 v1, vcc, v9, v1, vcc
	s_addc_u32 s15, s15, 0
	v_mov_b64_e32 v[8:9], s[6:7]
	s_waitcnt lgkmcnt(0)
	v_mul_lo_u32 v1, s2, v1
	v_mul_lo_u32 v7, s3, v3
	v_mad_u64_u32 v[4:5], s[2:3], s2, v3, v[4:5]
	s_add_u32 s18, s18, 8
	v_cmp_ge_u64_e32 vcc, s[16:17], v[8:9]
	v_add3_u32 v5, v7, v5, v1
	s_addc_u32 s19, s19, 0
	s_cbranch_vccnz .LBB0_8
; %bb.7:                                ;   in Loop: Header=BB0_2 Depth=1
	v_mov_b64_e32 v[8:9], v[10:11]
	s_branch .LBB0_2
.LBB0_8:
	s_lshl_b64 s[2:3], s[6:7], 3
	s_add_u32 s2, s12, s2
	s_addc_u32 s3, s13, s3
	s_load_dwordx2 s[6:7], s[2:3], 0x0
	s_load_dwordx2 s[12:13], s[0:1], 0x20
	v_mov_b32_e32 v17, 0
	v_mov_b32_e32 v54, 0
                                        ; implicit-def: $vgpr52
                                        ; implicit-def: $vgpr44
                                        ; implicit-def: $vgpr50
                                        ; implicit-def: $vgpr42
                                        ; implicit-def: $vgpr12
                                        ; implicit-def: $vgpr14
                                        ; implicit-def: $vgpr18
                                        ; implicit-def: $vgpr46
                                        ; implicit-def: $vgpr8
                                        ; implicit-def: $vgpr48
                                        ; implicit-def: $vgpr6
	s_waitcnt lgkmcnt(0)
	v_mad_u64_u32 v[4:5], s[0:1], s6, v10, v[4:5]
	v_mul_lo_u32 v1, s6, v11
	v_mul_lo_u32 v3, s7, v10
	s_mov_b32 s0, 0x3483484
	v_add3_u32 v5, v3, v5, v1
	v_mul_hi_u32 v1, v0, s0
	v_mul_u32_u24_e32 v1, 0x4e, v1
	v_sub_u32_e32 v70, v0, v1
	s_movk_i32 s0, 0x42
	v_cmp_gt_u64_e32 vcc, s[12:13], v[10:11]
	v_cmp_gt_u32_e64 s[0:1], s0, v70
	s_and_b64 s[6:7], vcc, s[0:1]
	v_lshl_add_u64 v[0:1], v[4:5], 3, s[10:11]
                                        ; implicit-def: $vgpr10
                                        ; implicit-def: $vgpr4
	s_and_saveexec_b64 s[2:3], s[6:7]
	s_cbranch_execz .LBB0_10
; %bb.9:
	v_mad_u64_u32 v[4:5], s[6:7], s8, v70, 0
	v_mov_b32_e32 v6, v5
	v_mad_u64_u32 v[6:7], s[6:7], s9, v70, v[6:7]
	v_mov_b32_e32 v5, v6
	v_add_u32_e32 v3, 0x42, v70
	v_lshl_add_u64 v[6:7], v[4:5], 3, v[0:1]
	v_mad_u64_u32 v[4:5], s[6:7], s8, v3, 0
	v_mov_b32_e32 v8, v5
	v_mad_u64_u32 v[8:9], s[6:7], s9, v3, v[8:9]
	v_mov_b32_e32 v5, v8
	v_add_u32_e32 v3, 0x84, v70
	v_lshl_add_u64 v[8:9], v[4:5], 3, v[0:1]
	global_load_dwordx2 v[54:55], v[6:7], off
	global_load_dwordx2 v[4:5], v[8:9], off
	v_mad_u64_u32 v[6:7], s[6:7], s8, v3, 0
	v_mov_b32_e32 v8, v7
	v_mad_u64_u32 v[8:9], s[6:7], s9, v3, v[8:9]
	v_add_u32_e32 v3, 0xc6, v70
	v_mov_b32_e32 v7, v8
	v_mad_u64_u32 v[8:9], s[6:7], s8, v3, 0
	v_mov_b32_e32 v10, v9
	v_mad_u64_u32 v[10:11], s[6:7], s9, v3, v[10:11]
	v_add_u32_e32 v3, 0x108, v70
	v_mov_b32_e32 v9, v10
	v_mad_u64_u32 v[10:11], s[6:7], s8, v3, 0
	v_mov_b32_e32 v12, v11
	v_mad_u64_u32 v[12:13], s[6:7], s9, v3, v[12:13]
	v_mov_b32_e32 v11, v12
	v_lshl_add_u64 v[10:11], v[10:11], 3, v[0:1]
	v_add_u32_e32 v3, 0x14a, v70
	global_load_dwordx2 v[52:53], v[10:11], off
	v_mad_u64_u32 v[10:11], s[6:7], s8, v3, 0
	v_mov_b32_e32 v12, v11
	v_mad_u64_u32 v[12:13], s[6:7], s9, v3, v[12:13]
	v_add_u32_e32 v3, 0x18c, v70
	v_mov_b32_e32 v11, v12
	v_mad_u64_u32 v[12:13], s[6:7], s8, v3, 0
	v_mov_b32_e32 v14, v13
	v_mad_u64_u32 v[14:15], s[6:7], s9, v3, v[14:15]
	v_mov_b32_e32 v13, v14
	v_add_u32_e32 v3, 0x1ce, v70
	v_lshl_add_u64 v[16:17], v[12:13], 3, v[0:1]
	v_mad_u64_u32 v[12:13], s[6:7], s8, v3, 0
	v_mov_b32_e32 v14, v13
	v_mad_u64_u32 v[14:15], s[6:7], s9, v3, v[14:15]
	v_mov_b32_e32 v13, v14
	v_lshl_add_u64 v[12:13], v[12:13], 3, v[0:1]
	v_add_u32_e32 v3, 0x210, v70
	global_load_dwordx2 v[42:43], v[12:13], off
	v_mad_u64_u32 v[12:13], s[6:7], s8, v3, 0
	v_mov_b32_e32 v14, v13
	v_mad_u64_u32 v[14:15], s[6:7], s9, v3, v[14:15]
	v_lshl_add_u64 v[10:11], v[10:11], 3, v[0:1]
	v_mov_b32_e32 v13, v14
	v_add_u32_e32 v3, 0x252, v70
	v_lshl_add_u64 v[20:21], v[12:13], 3, v[0:1]
	global_load_dwordx2 v[12:13], v[16:17], off
	global_load_dwordx2 v[14:15], v[10:11], off
	v_mad_u64_u32 v[10:11], s[6:7], s8, v3, 0
	v_mov_b32_e32 v16, v11
	v_mad_u64_u32 v[16:17], s[6:7], s9, v3, v[16:17]
	v_mov_b32_e32 v11, v16
	v_add_u32_e32 v3, 0x294, v70
	v_lshl_add_u64 v[16:17], v[10:11], 3, v[0:1]
	v_mad_u64_u32 v[10:11], s[6:7], s8, v3, 0
	v_mov_b32_e32 v18, v11
	v_mad_u64_u32 v[18:19], s[6:7], s9, v3, v[18:19]
	v_mov_b32_e32 v11, v18
	v_add_u32_e32 v3, 0x2d6, v70
	v_lshl_add_u64 v[22:23], v[10:11], 3, v[0:1]
	v_mad_u64_u32 v[10:11], s[6:7], s8, v3, 0
	v_mov_b32_e32 v18, v11
	v_lshl_add_u64 v[6:7], v[6:7], 3, v[0:1]
	v_lshl_add_u64 v[8:9], v[8:9], 3, v[0:1]
	v_mad_u64_u32 v[18:19], s[6:7], s9, v3, v[18:19]
	v_add_u32_e32 v3, 0x318, v70
	global_load_dwordx2 v[46:47], v[8:9], off
	global_load_dwordx2 v[48:49], v[6:7], off
	v_mad_u64_u32 v[6:7], s[6:7], s8, v3, 0
	v_mov_b32_e32 v8, v7
	v_mad_u64_u32 v[8:9], s[6:7], s9, v3, v[8:9]
	v_mov_b32_e32 v7, v8
	v_mov_b32_e32 v11, v18
	v_lshl_add_u64 v[26:27], v[6:7], 3, v[0:1]
	v_lshl_add_u64 v[24:25], v[10:11], 3, v[0:1]
	global_load_dwordx2 v[44:45], v[26:27], off
	global_load_dwordx2 v[18:19], v[20:21], off
	;; [unrolled: 1-line block ×5, first 2 shown]
	s_waitcnt vmcnt(12)
	v_mov_b32_e32 v17, v55
	s_waitcnt vmcnt(10)
	v_mov_b32_e32 v50, v53
	;; [unrolled: 2-line block ×4, first 2 shown]
.LBB0_10:
	s_or_b64 exec, exec, s[2:3]
	s_mov_b32 s2, 0xaaaaaaab
	v_mul_hi_u32 v3, v2, s2
	v_lshrrev_b32_e32 v3, 1, v3
	v_lshl_add_u32 v3, v3, 1, v3
	v_pk_add_f32 v[66:67], v[4:5], v[50:51] neg_lo:[0,1] neg_hi:[0,1]
	v_sub_u32_e32 v3, v2, v3
	v_add_f32_e32 v2, v4, v44
	s_mov_b32 s6, 0x3f116cb1
	v_mul_f32_e32 v68, 0xbf52af12, v67
	s_waitcnt vmcnt(0)
	v_pk_add_f32 v[24:25], v[48:49], v[6:7] neg_lo:[0,1] neg_hi:[0,1]
	s_mov_b32 s7, 0x3df6dbef
	v_fma_f32 v20, v2, s6, -v68
	v_pk_add_f32 v[34:35], v[48:49], v[6:7]
	s_mov_b32 s10, 0xbeb58ec6
	v_mul_f32_e32 v56, 0xbf6f5d39, v25
	v_pk_add_f32 v[28:29], v[46:47], v[8:9] neg_lo:[0,1] neg_hi:[0,1]
	v_mov_b32_e32 v53, v50
	v_add_f32_e32 v20, v54, v20
	s_mov_b32 s11, 0xbf788fa5
	v_fma_f32 v21, v34, s10, -v56
	v_pk_add_f32 v[36:37], v[46:47], v[8:9]
	v_mul_f32_e32 v58, 0xbe750f2a, v29
	v_pk_add_f32 v[30:31], v[52:53], v[10:11] neg_lo:[0,1] neg_hi:[0,1]
	v_add_f32_e32 v20, v20, v21
	v_fma_f32 v21, v36, s11, -v58
	v_pk_add_f32 v[38:39], v[52:53], v[10:11]
	s_mov_b32 s12, 0xbf3f9e67
	v_mul_f32_e32 v60, 0x3f29c268, v31
	v_pk_add_f32 v[26:27], v[14:15], v[18:19] neg_lo:[0,1] neg_hi:[0,1]
	v_add_f32_e32 v20, v20, v21
	s_mov_b32 s13, 0x3f62ad3f
	v_fma_f32 v21, v38, s12, -v60
	v_pk_add_f32 v[32:33], v[14:15], v[18:19]
	v_mul_f32_e32 v62, 0x3f7e222b, v27
	v_add_f32_e32 v20, v20, v21
	v_fma_f32 v21, v32, s7, -v62
	v_mov_b32_e32 v43, v16
	v_add_f32_e32 v40, v20, v21
	v_pk_add_f32 v[20:21], v[12:13], v[42:43] neg_lo:[0,1] neg_hi:[0,1]
	v_pk_add_f32 v[22:23], v[12:13], v[42:43]
	v_mul_f32_e32 v64, 0x3eedf032, v21
	v_mul_u32_u24_e32 v41, 0x35a, v3
	s_mov_b32 s18, 0xbf6f5d39
	s_mov_b32 s14, 0x3f29c268
	v_fma_f32 v3, v22, s13, -v64
	s_mov_b32 s2, 0xbf52af12
	s_mov_b32 s19, 0xbe750f2a
	;; [unrolled: 1-line block ×4, first 2 shown]
	v_add_f32_e32 v3, v40, v3
	v_lshlrev_b32_e32 v71, 2, v41
	v_mov_b32_e32 v40, v51
	s_and_saveexec_b64 s[20:21], s[0:1]
	s_cbranch_execz .LBB0_12
; %bb.11:
	v_mul_f32_e32 v69, 0xbf7e222b, v67
	v_fma_f32 v41, v2, s7, -v69
	v_mul_f32_e32 v53, 0xbeedf032, v67
	v_add_f32_e32 v94, v54, v41
	v_fma_f32 v41, v2, s13, -v53
	v_mov_b32_e32 v43, v54
	v_add_f32_e32 v95, v54, v41
	v_mov_b32_e32 v54, v25
	v_mov_b32_e32 v55, v34
	s_mov_b32 s3, s6
	s_mov_b32 s25, 0x3e750f2a
	;; [unrolled: 1-line block ×3, first 2 shown]
	v_pk_mul_f32 v[72:73], v[54:55], s[2:3]
	v_mov_b32_e32 v74, v29
	v_mov_b32_e32 v75, v36
	s_mov_b32 s22, s25
	v_pk_mul_f32 v[76:77], v[30:31], s[24:25] op_sel:[1,0]
	s_mov_b32 s25, s7
	v_mov_b32_e32 v41, v72
	v_pk_mul_f32 v[78:79], v[74:75], s[24:25]
	v_pk_fma_f32 v[54:55], v[54:55], s[2:3], v[40:41]
	v_mov_b32_e32 v41, v78
	v_pk_fma_f32 v[74:75], v[74:75], s[24:25], v[40:41]
	v_mov_b32_e32 v80, v31
	v_mov_b32_e32 v81, v38
	s_mov_b32 s24, s18
	s_mov_b32 s25, s10
	v_pk_mul_f32 v[82:83], v[80:81], s[24:25]
	s_mov_b32 s27, 0xbf29c268
	v_mov_b32_e32 v41, v82
	v_pk_fma_f32 v[80:81], v[80:81], s[24:25], v[40:41]
	v_mov_b32_e32 v84, v27
	v_mov_b32_e32 v85, v32
	s_mov_b32 s24, s27
	s_mov_b32 s25, s12
	v_pk_mul_f32 v[86:87], v[84:85], s[24:25]
	v_mov_b32_e32 v88, v21
	v_mov_b32_e32 v41, v86
	v_pk_fma_f32 v[84:85], v[84:85], s[24:25], v[40:41]
	v_mov_b32_e32 v89, v22
	s_mov_b32 s24, s19
	s_mov_b32 s25, s11
	v_pk_mul_f32 v[90:91], v[88:89], s[24:25]
	v_mul_f32_e32 v93, 0x3f62ad3f, v2
	v_mov_b32_e32 v41, v90
	v_pk_fma_f32 v[88:89], v[88:89], s[24:25], v[40:41]
	v_add_f32_e32 v41, v43, v4
	v_add_f32_e32 v41, v41, v48
	;; [unrolled: 1-line block ×5, first 2 shown]
	v_mov_b32_e32 v92, v12
	v_pk_add_f32 v[52:53], v[52:53], v[92:93]
	v_mov_b32_e32 v54, v18
	v_pk_add_f32 v[52:53], v[52:53], v[42:43]
	v_mov_b32_e32 v74, v10
	v_pk_add_f32 v[52:53], v[54:55], v[52:53]
	v_mov_b32_e32 v80, v8
	v_pk_add_f32 v[52:53], v[74:75], v[52:53]
	v_mov_b32_e32 v84, v6
	v_pk_add_f32 v[52:53], v[80:81], v[52:53]
	v_mov_b32_e32 v45, v89
	v_pk_add_f32 v[52:53], v[84:85], v[52:53]
	v_mul_u32_u24_e32 v6, 52, v70
	v_add3_u32 v10, 0, v6, v71
	v_pk_add_f32 v[52:53], v[44:45], v[52:53]
	ds_write2_b32 v10, v52, v53 offset1:1
	v_mul_f32_e32 v52, 0x3f116cb1, v2
	v_mul_f32_e32 v53, 0x3df6dbef, v2
	v_pk_add_f32 v[52:53], v[68:69], v[52:53]
	v_mul_f32_e32 v54, 0xbeb58ec6, v34
	v_mul_f32_e32 v55, 0xbf788fa5, v34
	;; [unrolled: 1-line block ×3, first 2 shown]
	v_pk_add_f32 v[52:53], v[42:43], v[52:53] op_sel:[1,0]
	v_pk_add_f32 v[54:55], v[56:57], v[54:55]
	v_mul_f32_e32 v59, 0x3f6f5d39, v29
	v_pk_add_f32 v[52:53], v[52:53], v[54:55]
	v_mul_f32_e32 v54, 0xbf788fa5, v36
	v_mul_f32_e32 v55, 0xbeb58ec6, v36
	v_pk_add_f32 v[54:55], v[58:59], v[54:55]
	v_mul_f32_e32 v61, 0x3eedf032, v31
	v_pk_add_f32 v[52:53], v[52:53], v[54:55]
	v_mul_f32_e32 v54, 0xbf3f9e67, v38
	v_mul_f32_e32 v55, 0x3f62ad3f, v38
	;; [unrolled: 5-line block ×4, first 2 shown]
	v_pk_add_f32 v[54:55], v[64:65], v[54:55]
	s_mov_b32 s26, s18
	v_pk_add_f32 v[52:53], v[52:53], v[54:55]
	ds_write2_b32 v10, v52, v53 offset0:2 offset1:3
	s_mov_b32 s30, s10
	s_mov_b32 s31, s12
	;; [unrolled: 1-line block ×4, first 2 shown]
	v_pk_mul_f32 v[52:53], v[66:67], s[26:27] op_sel:[1,0]
	s_mov_b32 s24, s12
	s_mov_b32 s25, s7
	v_pk_fma_f32 v[54:55], v[2:3], s[30:31], v[52:53] op_sel_hi:[0,1,1]
	v_pk_mul_f32 v[68:69], v[24:25], s[28:29] op_sel:[1,0]
	v_pk_add_f32 v[54:55], v[42:43], v[54:55] op_sel:[1,0]
	v_pk_fma_f32 v[74:75], v[34:35], s[24:25], v[68:69] op_sel_hi:[0,1,1]
	s_mov_b32 s28, s15
	s_mov_b32 s29, s2
	v_pk_add_f32 v[54:55], v[54:55], v[74:75]
	s_mov_b32 s26, s13
	s_mov_b32 s27, s6
	v_pk_mul_f32 v[74:75], v[28:29], s[28:29] op_sel:[1,0]
	s_mov_b32 s28, s7
	v_pk_fma_f32 v[80:81], v[36:37], s[26:27], v[74:75] op_sel_hi:[0,1,1]
	s_mov_b32 s29, s11
	v_pk_add_f32 v[54:55], v[54:55], v[80:81]
	v_pk_fma_f32 v[80:81], v[38:39], s[28:29], v[76:77] op_sel_hi:[0,1,1]
	s_mov_b32 s23, s15
	v_pk_add_f32 v[54:55], v[54:55], v[80:81]
	s_mov_b32 s34, s11
	s_mov_b32 s35, s13
	v_pk_mul_f32 v[80:81], v[26:27], s[22:23] op_sel:[1,0]
	s_mov_b32 s22, 0x3f52af12
	v_pk_fma_f32 v[84:85], v[32:33], s[34:35], v[80:81] op_sel_hi:[0,1,1]
	s_mov_b32 s23, s18
	v_pk_add_f32 v[54:55], v[54:55], v[84:85]
	s_mov_b32 s36, s6
	s_mov_b32 s37, s10
	v_pk_mul_f32 v[84:85], v[20:21], s[22:23] op_sel:[1,0]
	v_mul_f32_e32 v6, 0xbe750f2a, v67
	v_pk_fma_f32 v[88:89], v[22:23], s[36:37], v[84:85] op_sel_hi:[0,1,1]
	v_pk_add_f32 v[54:55], v[54:55], v[88:89]
	v_mul_f32_e32 v8, 0xbf788fa5, v2
	ds_write2_b32 v10, v54, v55 offset0:4 offset1:5
	v_pk_add_f32 v[54:55], v[8:9], v[6:7]
	v_pk_add_f32 v[66:67], v[8:9], v[6:7] neg_lo:[0,1] neg_hi:[0,1]
	v_mul_f32_e32 v6, 0x3f62ad3f, v34
	v_mul_f32_e32 v8, 0x3eedf032, v25
	v_mov_b32_e32 v55, v66
	v_pk_add_f32 v[66:67], v[6:7], v[8:9]
	v_pk_add_f32 v[88:89], v[6:7], v[8:9] neg_lo:[0,1] neg_hi:[0,1]
	v_pk_add_f32 v[54:55], v[42:43], v[54:55] op_sel:[1,0]
	v_mov_b32_e32 v67, v88
	v_mul_f32_e32 v6, 0xbf3f9e67, v36
	v_mul_f32_e32 v8, 0xbf29c268, v29
	v_pk_add_f32 v[54:55], v[54:55], v[66:67]
	v_pk_add_f32 v[66:67], v[6:7], v[8:9]
	v_pk_add_f32 v[88:89], v[6:7], v[8:9] neg_lo:[0,1] neg_hi:[0,1]
	v_mul_f32_e32 v6, 0x3f116cb1, v38
	v_mov_b32_e32 v67, v88
	v_mul_f32_e32 v8, 0x3f52af12, v31
	v_pk_add_f32 v[54:55], v[54:55], v[66:67]
	v_pk_add_f32 v[66:67], v[6:7], v[8:9]
	v_pk_add_f32 v[88:89], v[6:7], v[8:9] neg_lo:[0,1] neg_hi:[0,1]
	v_mul_f32_e32 v6, 0xbeb58ec6, v32
	v_mov_b32_e32 v67, v88
	;; [unrolled: 6-line block ×3, first 2 shown]
	v_mul_f32_e32 v8, 0x3f7e222b, v21
	v_pk_fma_f32 v[52:53], v[2:3], s[30:31], v[52:53] op_sel_hi:[0,1,1] neg_lo:[0,0,1] neg_hi:[0,0,1]
	v_fma_f32 v2, v34, s11, -v57
	v_pk_add_f32 v[54:55], v[54:55], v[66:67]
	v_pk_add_f32 v[66:67], v[6:7], v[8:9]
	v_pk_add_f32 v[88:89], v[6:7], v[8:9] neg_lo:[0,1] neg_hi:[0,1]
	v_add_f32_e32 v2, v94, v2
	v_fma_f32 v6, v36, s10, -v59
	v_add_f32_e32 v2, v2, v6
	v_fma_f32 v6, v38, s13, -v61
	;; [unrolled: 2-line block ×3, first 2 shown]
	v_pk_add_f32 v[42:43], v[42:43], v[52:53] op_sel:[1,0]
	v_add_f32_e32 v2, v2, v6
	v_fma_f32 v6, v22, s12, -v65
	v_pk_fma_f32 v[52:53], v[34:35], s[24:25], v[68:69] op_sel_hi:[0,1,1] neg_lo:[0,0,1] neg_hi:[0,0,1]
	v_add_f32_e32 v6, v2, v6
	v_sub_f32_e32 v2, v73, v72
	v_pk_add_f32 v[42:43], v[42:43], v[52:53]
	v_pk_fma_f32 v[52:53], v[36:37], s[26:27], v[74:75] op_sel_hi:[0,1,1] neg_lo:[0,0,1] neg_hi:[0,0,1]
	v_add_f32_e32 v2, v95, v2
	v_sub_f32_e32 v8, v79, v78
	v_pk_add_f32 v[42:43], v[42:43], v[52:53]
	;; [unrolled: 4-line block ×3, first 2 shown]
	v_pk_fma_f32 v[52:53], v[32:33], s[34:35], v[80:81] op_sel_hi:[0,1,1] neg_lo:[0,0,1] neg_hi:[0,0,1]
	v_mov_b32_e32 v67, v88
	v_add_f32_e32 v2, v2, v8
	v_sub_f32_e32 v8, v87, v86
	v_pk_add_f32 v[42:43], v[42:43], v[52:53]
	v_pk_fma_f32 v[52:53], v[22:23], s[36:37], v[84:85] op_sel_hi:[0,1,1] neg_lo:[0,0,1] neg_hi:[0,0,1]
	v_pk_add_f32 v[54:55], v[54:55], v[66:67]
	v_add_f32_e32 v2, v2, v8
	v_sub_f32_e32 v8, v91, v90
	v_pk_add_f32 v[42:43], v[42:43], v[52:53]
	ds_write2_b32 v10, v54, v55 offset0:6 offset1:7
	v_add_f32_e32 v8, v2, v8
	v_mov_b32_e32 v2, v43
	v_mov_b32_e32 v41, v42
	ds_write2_b32 v10, v43, v42 offset0:8 offset1:9
	ds_write2_b32 v10, v6, v3 offset0:10 offset1:11
	ds_write_b32 v10, v8 offset:48
.LBB0_12:
	s_or_b64 exec, exec, s[20:21]
	v_pk_add_f32 v[42:43], v[16:17], v[4:5]
	v_sub_f32_e32 v52, v4, v44
	v_pk_add_f32 v[42:43], v[42:43], v[48:49]
	s_mov_b32 s3, 0xbf7e222b
	v_pk_add_f32 v[42:43], v[42:43], v[46:47]
	v_pk_mul_f32 v[54:55], v[52:53], s[2:3] op_sel_hi:[0,1]
	v_mov_b32_e32 v4, v43
	v_pk_add_f32 v[56:57], v[4:5], v[50:51]
	v_pk_mul_f32 v[58:59], v[24:25], s[18:19] op_sel_hi:[0,1]
	s_mov_b32 s21, 0x3f6f5d39
	s_mov_b32 s20, s19
	v_pk_fma_f32 v[46:47], v[56:57], s[6:7], v[54:55] op_sel:[1,0,0]
	s_mov_b32 s22, s11
	s_mov_b32 s23, s10
	v_pk_mul_f32 v[60:61], v[28:29], s[20:21] op_sel_hi:[0,1]
	v_pk_fma_f32 v[4:5], v[34:35], s[10:11], v[58:59] op_sel:[1,0,0]
	v_pk_add_f32 v[46:47], v[16:17], v[46:47] op_sel:[1,0]
	v_lshlrev_b32_e32 v6, 2, v70
	v_pk_mul_f32 v[62:63], v[30:31], s[14:15] op_sel_hi:[0,1]
	s_mov_b32 s17, s2
	v_pk_fma_f32 v[42:43], v[36:37], s[22:23], v[60:61] op_sel:[1,0,0]
	v_pk_add_f32 v[4:5], v[46:47], v[4:5]
	v_add_u32_e32 v14, 0, v6
	s_mov_b32 s20, s7
	s_mov_b32 s21, s6
	v_pk_mul_f32 v[64:65], v[26:27], s[16:17] op_sel_hi:[0,1]
	v_pk_fma_f32 v[44:45], v[38:39], s[12:13], v[62:63] op_sel:[1,0,0]
	v_pk_add_f32 v[4:5], v[4:5], v[42:43]
	v_add_u32_e32 v68, v14, v71
	v_pk_add_f32 v[4:5], v[4:5], v[44:45]
	v_pk_fma_f32 v[42:43], v[32:33], s[20:21], v[64:65] op_sel:[1,0,0]
	v_add3_u32 v69, 0, v71, v6
	v_add_u32_e32 v10, 0x200, v68
	v_add_u32_e32 v6, 0x400, v68
	;; [unrolled: 1-line block ×4, first 2 shown]
	v_pk_add_f32 v[4:5], v[4:5], v[42:43]
	s_waitcnt lgkmcnt(0)
	s_barrier
	ds_read_b32 v2, v69
	ds_read2_b32 v[48:49], v68 offset0:78 offset1:156
	ds_read2_b32 v[46:47], v10 offset0:106 offset1:184
	;; [unrolled: 1-line block ×5, first 2 shown]
	s_mov_b32 s17, 0xbf29c268
	s_mov_b32 s16, s15
	;; [unrolled: 1-line block ×4, first 2 shown]
	v_pk_mul_f32 v[66:67], v[20:21], s[16:17] op_sel_hi:[0,1]
	v_pk_fma_f32 v[72:73], v[22:23], s[18:19], v[66:67] op_sel:[1,0,0]
	s_waitcnt lgkmcnt(0)
	v_pk_add_f32 v[4:5], v[4:5], v[72:73]
	s_barrier
	s_and_saveexec_b64 s[14:15], s[0:1]
	s_cbranch_execz .LBB0_14
; %bb.13:
	v_mov_b32_e32 v84, v35
	v_mov_b32_e32 v85, v24
	s_mov_b32 s1, 0xbf52af12
	s_mov_b32 s0, 0x3f116cb1
	v_pk_mul_f32 v[86:87], v[84:85], s[0:1]
	s_mov_b32 s2, 0x3df6dbef
	v_mov_b32_e32 v21, v86
	v_add_f32_e32 v41, v86, v87
	v_mov_b32_e32 v86, v37
	v_mov_b32_e32 v87, v28
	v_pk_mul_f32 v[74:75], v[34:35], s[10:11] op_sel:[1,0]
	v_pk_mul_f32 v[88:89], v[86:87], s[2:3]
	s_mov_b32 s10, 0xbeb58ec6
	v_pk_fma_f32 v[84:85], v[84:85], s[0:1], v[20:21] neg_lo:[1,0,0] neg_hi:[1,0,0]
	v_mov_b32_e32 v21, v88
	v_add_f32_e32 v102, v88, v89
	v_mov_b32_e32 v88, v39
	v_mov_b32_e32 v89, v30
	s_mov_b32 s11, 0xbf6f5d39
	v_mov_b32_e32 v98, v15
	v_mov_b32_e32 v99, 0x3f62ad3f
	v_pk_mul_f32 v[90:91], v[88:89], s[10:11]
	v_mul_f32_e32 v97, 0xbeedf032, v52
	v_mov_b32_e32 v96, v13
	v_pk_add_f32 v[100:101], v[56:57], v[98:99]
	v_pk_fma_f32 v[86:87], v[86:87], s[2:3], v[20:21] neg_lo:[1,0,0] neg_hi:[1,0,0]
	v_mov_b32_e32 v21, v90
	v_pk_add_f32 v[100:101], v[100:101], v[96:97]
	v_pk_fma_f32 v[96:97], v[56:57], v[98:99], v[96:97] neg_lo:[0,0,1] neg_hi:[0,0,1]
	v_add_f32_e32 v13, v90, v91
	v_pk_mul_f32 v[90:91], v[56:57], v[98:99]
	s_mov_b32 s16, 0xbf3f9e67
	v_mov_b32_e32 v92, v33
	v_mov_b32_e32 v93, v26
	;; [unrolled: 1-line block ×3, first 2 shown]
	v_fmac_f32_e32 v91, 0xbeedf032, v52
	v_pk_mul_f32 v[94:95], v[92:93], s[16:17]
	v_mov_b32_e32 v84, v19
	v_add_f32_e32 v15, v17, v91
	v_mov_b32_e32 v90, v17
	v_mov_b32_e32 v91, v17
	v_pk_add_f32 v[16:17], v[100:101], v[16:17]
	v_pk_fma_f32 v[88:89], v[88:89], s[10:11], v[20:21] neg_lo:[1,0,0] neg_hi:[1,0,0]
	v_mov_b32_e32 v21, v94
	v_pk_add_f32 v[16:17], v[84:85], v[16:17]
	v_mov_b32_e32 v86, v11
	v_pk_fma_f32 v[92:93], v[92:93], s[16:17], v[20:21] neg_lo:[1,0,0] neg_hi:[1,0,0]
	v_pk_add_f32 v[16:17], v[86:87], v[16:17]
	v_mov_b32_e32 v88, v9
	v_pk_mul_f32 v[18:19], v[56:57], s[6:7] op_sel:[1,0]
	s_mov_b32 s7, 0xbe750f2a
	v_pk_add_f32 v[16:17], v[88:89], v[16:17]
	v_mov_b32_e32 v92, v7
	s_mov_b32 s6, 0xbf788fa5
	v_add_f32_e32 v7, v15, v41
	v_mov_b32_e32 v88, v23
	v_mov_b32_e32 v89, v20
	v_pk_add_f32 v[16:17], v[92:93], v[16:17]
	v_add_f32_e32 v7, v7, v102
	v_pk_mul_f32 v[92:93], v[88:89], s[6:7]
	v_add_f32_e32 v9, v7, v13
	v_mov_b32_e32 v7, v92
	v_pk_fma_f32 v[88:89], v[88:89], s[6:7], v[6:7] neg_lo:[1,0,0] neg_hi:[1,0,0]
	v_pk_add_f32 v[18:19], v[18:19], v[54:55] neg_lo:[0,1] neg_hi:[0,1]
	v_mov_b32_e32 v41, v89
	v_pk_mul_f32 v[78:79], v[36:37], s[22:23] op_sel:[1,0]
	v_pk_add_f32 v[16:17], v[40:41], v[16:17]
	v_pk_add_f32 v[40:41], v[74:75], v[58:59] neg_lo:[0,1] neg_hi:[0,1]
	v_pk_add_f32 v[18:19], v[90:91], v[18:19]
	v_pk_mul_f32 v[82:83], v[38:39], s[12:13] op_sel:[1,0]
	v_pk_add_f32 v[58:59], v[78:79], v[60:61] neg_lo:[0,1] neg_hi:[0,1]
	v_pk_add_f32 v[18:19], v[18:19], v[40:41]
	v_pk_mul_f32 v[84:85], v[32:33], s[20:21] op_sel:[1,0]
	;; [unrolled: 3-line block ×3, first 2 shown]
	v_pk_add_f32 v[18:19], v[18:19], v[60:61]
	v_pk_add_f32 v[40:41], v[84:85], v[64:65] neg_lo:[0,1] neg_hi:[0,1]
	v_mov_b32_e32 v53, v52
	v_pk_add_f32 v[18:19], v[18:19], v[40:41]
	v_pk_add_f32 v[40:41], v[86:87], v[66:67] neg_lo:[0,1] neg_hi:[0,1]
	s_mov_b32 s22, s11
	s_mov_b32 s23, s17
	v_pk_add_f32 v[18:19], v[18:19], v[40:41]
	v_pk_mul_f32 v[40:41], v[52:53], s[22:23]
	s_mov_b32 s22, 0x3f29c268
	v_mov_b32_e32 v25, v24
	s_mov_b32 s23, 0x3f7e222b
	v_mov_b32_e32 v96, v57
	v_mov_b32_e32 v97, v57
	v_mul_f32_e32 v34, 0x3eedf032, v24
	s_mov_b32 s17, s2
	v_pk_mul_f32 v[24:25], v[24:25], s[22:23]
	s_mov_b32 s22, s2
	s_mov_b32 s24, s3
	;; [unrolled: 1-line block ×4, first 2 shown]
	v_mov_b32_e32 v72, v35
	v_mov_b32_e32 v73, v35
	;; [unrolled: 1-line block ×3, first 2 shown]
	s_mov_b32 s18, 0x3eedf032
	s_mov_b32 s19, s1
	v_pk_fma_f32 v[60:61], v[96:97], s[2:3], v[40:41] neg_lo:[0,0,1] neg_hi:[0,0,1]
	v_pk_fma_f32 v[40:41], v[96:97], s[2:3], v[40:41]
	v_mov_b32_e32 v76, v37
	v_mov_b32_e32 v77, v37
	;; [unrolled: 1-line block ×3, first 2 shown]
	v_mul_f32_e32 v22, 0xbe750f2a, v52
	s_mov_b32 s12, 0x3f62ad3f
	v_mul_f32_e32 v38, 0xbf29c268, v28
	v_pk_fma_f32 v[52:53], v[72:73], s[16:17], v[24:25] neg_lo:[0,0,1] neg_hi:[0,0,1]
	s_mov_b32 s13, s0
	v_pk_mul_f32 v[28:29], v[28:29], s[18:19]
	s_mov_b32 s25, 0x3e750f2a
	v_pk_add_f32 v[60:61], v[90:91], v[60:61]
	v_pk_fma_f32 v[24:25], v[72:73], s[16:17], v[24:25]
	v_pk_add_f32 v[40:41], v[90:91], v[40:41]
	v_mov_b32_e32 v80, v39
	v_mov_b32_e32 v81, v39
	;; [unrolled: 1-line block ×3, first 2 shown]
	v_mul_f32_e32 v88, 0x3f52af12, v30
	v_pk_fma_f32 v[54:55], v[76:77], s[12:13], v[28:29] neg_lo:[0,0,1] neg_hi:[0,0,1]
	s_mov_b32 s23, s6
	v_pk_mul_f32 v[30:31], v[30:31], s[24:25]
	v_pk_add_f32 v[52:53], v[60:61], v[52:53]
	s_mov_b32 s24, s25
	s_mov_b32 s25, s18
	v_pk_fma_f32 v[28:29], v[76:77], s[12:13], v[28:29]
	v_pk_add_f32 v[24:25], v[40:41], v[24:25]
	v_mov_b32_e32 v98, v33
	v_mov_b32_e32 v99, v33
	v_mul_f32_e32 v32, 0x3f62ad3f, v35
	v_mul_f32_e32 v104, 0xbf6f5d39, v26
	v_pk_fma_f32 v[58:59], v[80:81], s[22:23], v[30:31] neg_lo:[0,0,1] neg_hi:[0,0,1]
	v_pk_add_f32 v[52:53], v[52:53], v[54:55]
	s_mov_b32 s7, s12
	v_pk_mul_f32 v[26:27], v[26:27], s[24:25]
	v_pk_fma_f32 v[30:31], v[80:81], s[22:23], v[30:31]
	v_pk_add_f32 v[24:25], v[24:25], v[28:29]
	v_mov_b32_e32 v21, v20
	v_mul_f32_e32 v36, 0xbf3f9e67, v37
	s_mov_b32 s20, 0x3f52af12
	v_pk_add_f32 v[52:53], v[52:53], v[58:59]
	v_pk_fma_f32 v[54:55], v[98:99], s[6:7], v[26:27] neg_lo:[0,0,1] neg_hi:[0,0,1]
	s_mov_b32 s21, s11
	v_pk_add_f32 v[24:25], v[24:25], v[30:31]
	v_pk_add_f32 v[28:29], v[32:33], v[34:35] neg_lo:[0,1] neg_hi:[0,1]
	v_pk_add_f32 v[30:31], v[32:33], v[34:35]
	v_mov_b32_e32 v100, v23
	v_mov_b32_e32 v101, v23
	v_mul_f32_e32 v56, 0x3f116cb1, v39
	v_mul_f32_e32 v102, 0xbeb58ec6, v33
	v_pk_add_f32 v[52:53], v[52:53], v[54:55]
	s_mov_b32 s1, s10
	v_pk_mul_f32 v[54:55], v[20:21], s[20:21]
	v_pk_fma_f32 v[26:27], v[98:99], s[6:7], v[26:27]
	v_mov_b32_e32 v29, v30
	v_pk_add_f32 v[30:31], v[36:37], v[38:39] neg_lo:[0,1] neg_hi:[0,1]
	v_pk_add_f32 v[32:33], v[36:37], v[38:39]
	v_add_f32_e32 v11, v94, v95
	v_mul_f32_e32 v94, 0xbf788fa5, v57
	v_pk_add_f32 v[24:25], v[24:25], v[26:27]
	v_pk_fma_f32 v[26:27], v[100:101], s[0:1], v[54:55]
	v_mov_b32_e32 v31, v32
	v_pk_add_f32 v[32:33], v[56:57], v[88:89] neg_lo:[0,1] neg_hi:[0,1]
	v_pk_add_f32 v[34:35], v[56:57], v[88:89]
	v_pk_add_f32 v[24:25], v[24:25], v[26:27]
	v_mul_f32_e32 v26, 0x3df6dbef, v23
	v_mov_b32_e32 v33, v34
	v_pk_add_f32 v[34:35], v[94:95], v[22:23] neg_lo:[0,1] neg_hi:[0,1]
	v_pk_add_f32 v[22:23], v[94:95], v[22:23]
	v_add_f32_e32 v7, v9, v11
	v_mov_b32_e32 v35, v22
	v_pk_add_f32 v[22:23], v[90:91], v[34:35]
	v_add_f32_e32 v9, v92, v93
	v_pk_add_f32 v[22:23], v[22:23], v[28:29]
	v_pk_add_f32 v[28:29], v[102:103], v[104:105] neg_lo:[0,1] neg_hi:[0,1]
	v_pk_add_f32 v[22:23], v[22:23], v[30:31]
	v_pk_add_f32 v[30:31], v[102:103], v[104:105]
	v_mul_f32_e32 v20, 0x3f7e222b, v20
	v_pk_add_f32 v[22:23], v[22:23], v[32:33]
	v_mov_b32_e32 v29, v30
	v_add_f32_e32 v9, v7, v9
	v_pk_add_f32 v[22:23], v[22:23], v[28:29]
	v_pk_add_f32 v[28:29], v[26:27], v[20:21] neg_lo:[0,1] neg_hi:[0,1]
	v_pk_add_f32 v[20:21], v[26:27], v[20:21]
	v_mul_u32_u24_e32 v7, 48, v70
	v_pk_fma_f32 v[58:59], v[100:101], s[0:1], v[54:55] neg_lo:[0,0,1] neg_hi:[0,0,1]
	v_mov_b32_e32 v29, v20
	v_add3_u32 v11, v14, v7, v71
	v_mov_b32_e32 v14, v5
	v_pk_add_f32 v[52:53], v[52:53], v[58:59]
	v_pk_add_f32 v[20:21], v[22:23], v[28:29]
	ds_write2_b32 v11, v16, v17 offset1:1
	ds_write2_b32 v11, v18, v19 offset0:2 offset1:3
	ds_write2_b32 v11, v52, v53 offset0:4 offset1:5
	;; [unrolled: 1-line block ×4, first 2 shown]
	v_mov_b32_e32 v5, v4
	ds_write2_b32 v11, v14, v4 offset0:10 offset1:11
	ds_write_b32 v11, v9 offset:48
.LBB0_14:
	s_or_b64 exec, exec, s[14:15]
	s_movk_i32 s0, 0x4f
	v_mul_lo_u16_sdwa v5, v70, s0 dst_sel:DWORD dst_unused:UNUSED_PAD src0_sel:BYTE_0 src1_sel:DWORD
	v_lshrrev_b16_e32 v64, 10, v5
	v_mul_lo_u16_e32 v5, 13, v64
	v_sub_u16_e32 v65, v70, v5
	v_mov_b32_e32 v5, 10
	v_mul_u32_u24_sdwa v5, v65, v5 dst_sel:DWORD dst_unused:UNUSED_PAD src0_sel:BYTE_0 src1_sel:DWORD
	v_lshlrev_b32_e32 v5, 3, v5
	s_waitcnt lgkmcnt(0)
	s_barrier
	global_load_dwordx4 v[18:21], v5, s[4:5] offset:32
	global_load_dwordx3 v[52:54], v5, s[4:5] offset:48
	global_load_dwordx4 v[22:25], v5, s[4:5]
	global_load_dword v11, v5, s[4:5] offset:76
	global_load_dwordx4 v[28:31], v5, s[4:5] offset:16
	global_load_dwordx4 v[36:39], v5, s[4:5] offset:60
	ds_read_b32 v14, v69
	ds_read2_b32 v[16:17], v68 offset0:78 offset1:156
	ds_read2_b32 v[26:27], v10 offset0:106 offset1:184
	;; [unrolled: 1-line block ×5, first 2 shown]
	v_mov_b32_e32 v40, v45
	v_mov_b32_e32 v35, v50
	;; [unrolled: 1-line block ×3, first 2 shown]
	s_waitcnt lgkmcnt(1)
	v_mov_b32_e32 v34, v9
	s_waitcnt lgkmcnt(0)
	v_mov_b32_e32 v41, v32
	v_mov_b32_e32 v58, v9
	;; [unrolled: 1-line block ×4, first 2 shown]
	s_mov_b32 s7, 0xbe11bafb
	s_mov_b32 s11, 0xbf7d64f0
	;; [unrolled: 1-line block ×20, first 2 shown]
	s_barrier
	s_waitcnt vmcnt(5)
	v_mov_b32_e32 v60, v21
	s_waitcnt vmcnt(4)
	v_mov_b32_e32 v61, v52
	s_waitcnt vmcnt(3)
	v_mul_f32_e32 v13, v16, v23
	v_mul_f32_e32 v5, v48, v23
	s_waitcnt vmcnt(1)
	v_mov_b32_e32 v62, v28
	v_mov_b32_e32 v63, v24
	;; [unrolled: 1-line block ×4, first 2 shown]
	s_waitcnt vmcnt(0)
	v_mov_b32_e32 v29, v38
	v_mul_f32_e32 v9, v51, v11
	v_fmac_f32_e32 v13, v48, v22
	v_fma_f32 v23, v16, v22, -v5
	v_mov_b32_e32 v48, v46
	v_mov_b32_e32 v16, v26
	v_pk_mul_f32 v[28:29], v[40:41], v[28:29]
	v_mul_f32_e32 v15, v33, v11
	v_mov_b32_e32 v55, v37
	v_fma_f32 v5, v33, v39, -v9
	v_pk_mul_f32 v[32:33], v[16:17], v[24:25]
	v_pk_mul_f32 v[24:25], v[48:49], v[24:25]
	v_pk_fma_f32 v[28:29], v[34:35], v[36:37], v[28:29]
	v_mov_b32_e32 v37, v38
	v_fmac_f32_e32 v15, v51, v39
	v_sub_f32_e32 v22, v23, v5
	v_pk_fma_f32 v[34:35], v[16:17], v[62:63], v[24:25] neg_lo:[0,0,1] neg_hi:[0,0,1]
	v_pk_mul_f32 v[16:17], v[56:57], v[36:37]
	v_add_f32_e32 v9, v2, v13
	v_add_f32_e32 v12, v13, v15
	v_pk_fma_f32 v[32:33], v[48:49], v[62:63], v[32:33]
	v_pk_mul_f32 v[24:25], v[22:23], s[10:11] op_sel_hi:[0,1]
	v_pk_fma_f32 v[16:17], v[58:59], v[54:55], v[16:17] neg_lo:[0,0,1] neg_hi:[0,0,1]
	v_mul_f32_e32 v11, 0xbf4178ce, v22
	v_add_f32_e32 v9, v9, v33
	v_pk_fma_f32 v[36:37], v[12:13], s[12:13], v[24:25] op_sel_hi:[0,1,1]
	v_pk_add_f32 v[40:41], v[34:35], v[16:17] neg_lo:[0,1] neg_hi:[0,1]
	v_fmamk_f32 v26, v12, 0xbf27a4f4, v11
	v_fma_f32 v11, v12, s0, -v11
	v_pk_add_f32 v[38:39], v[32:33], v[28:29]
	v_add_f32_e32 v45, v9, v32
	v_add_f32_e32 v9, v2, v36
	;; [unrolled: 1-line block ×3, first 2 shown]
	v_pk_mul_f32 v[36:37], v[40:41], s[14:15]
	v_add_f32_e32 v11, v2, v11
	v_pk_fma_f32 v[50:51], v[38:39], s[6:7], v[36:37]
	v_pk_fma_f32 v[36:37], v[38:39], s[6:7], v[36:37] neg_lo:[0,0,1] neg_hi:[0,0,1]
	v_add_f32_e32 v26, v2, v26
	v_pk_mul_f32 v[48:49], v[40:41], s[2:3] op_sel:[1,0]
	v_add_f32_e32 v11, v37, v11
	v_pk_fma_f32 v[24:25], v[12:13], s[12:13], v[24:25] op_sel_hi:[0,1,1] neg_lo:[0,0,1] neg_hi:[0,0,1]
	v_add_f32_e32 v26, v51, v26
	v_add_f32_e32 v11, v36, v11
	v_pk_fma_f32 v[36:37], v[38:39], s[0:1], v[48:49] op_sel:[1,0,0]
	v_pk_add_f32 v[24:25], v[2:3], v[24:25] op_sel_hi:[0,1]
	v_add_f32_e32 v50, v50, v26
	v_add_f32_e32 v9, v36, v9
	v_add_f32_e32 v26, v37, v46
	v_pk_fma_f32 v[36:37], v[38:39], s[0:1], v[48:49] op_sel:[1,0,0] neg_lo:[0,0,1] neg_hi:[0,0,1]
	v_mov_b32_e32 v46, v42
	v_pk_add_f32 v[24:25], v[36:37], v[24:25]
	v_pk_mul_f32 v[36:37], v[40:41], s[16:17] op_sel_hi:[0,1]
	v_pk_fma_f32 v[48:49], v[38:39], s[18:19], v[36:37] op_sel_hi:[0,1,1]
	v_pk_fma_f32 v[36:37], v[38:39], s[18:19], v[36:37] op_sel_hi:[0,1,1] neg_lo:[0,0,1] neg_hi:[0,0,1]
	v_add_f32_e32 v51, v48, v9
	v_add_f32_e32 v54, v49, v26
	v_pk_add_f32 v[48:49], v[36:37], v[24:25]
	v_mov_b32_e32 v37, v30
	v_mov_b32_e32 v26, v6
	;; [unrolled: 1-line block ×4, first 2 shown]
	v_pk_mul_f32 v[18:19], v[26:27], v[30:31]
	v_mov_b32_e32 v52, v20
	v_pk_fma_f32 v[24:25], v[46:47], v[36:37], v[18:19]
	v_pk_mul_f32 v[18:19], v[46:47], v[30:31]
	v_mov_b32_e32 v30, v43
	v_mov_b32_e32 v31, v8
	v_pk_fma_f32 v[26:27], v[26:27], v[36:37], v[18:19] neg_lo:[0,0,1] neg_hi:[0,0,1]
	v_mov_b32_e32 v18, v7
	v_mov_b32_e32 v19, v44
	v_pk_mul_f32 v[30:31], v[30:31], v[52:53]
	v_mov_b32_e32 v6, v7
	v_mov_b32_e32 v7, v8
	;; [unrolled: 1-line block ×5, first 2 shown]
	v_pk_fma_f32 v[30:31], v[18:19], v[60:61], v[30:31]
	v_mov_b32_e32 v60, v20
	v_pk_mul_f32 v[8:9], v[8:9], v[52:53]
	s_mov_b32 s19, 0xbe903f40
	v_pk_fma_f32 v[36:37], v[6:7], v[60:61], v[8:9] neg_lo:[0,0,1] neg_hi:[0,0,1]
	v_add_f32_e32 v6, v45, v25
	v_add_f32_e32 v6, v6, v24
	;; [unrolled: 1-line block ×6, first 2 shown]
	v_pk_add_f32 v[18:19], v[26:27], v[36:37] neg_lo:[0,1] neg_hi:[0,1]
	s_mov_b32 s18, s17
	v_add_f32_e32 v52, v6, v15
	v_pk_add_f32 v[8:9], v[24:25], v[30:31]
	s_mov_b32 s13, s1
	v_pk_mul_f32 v[6:7], v[18:19], s[18:19]
	s_mov_b32 s15, s19
	v_pk_fma_f32 v[20:21], v[8:9], s[12:13], v[6:7]
	v_pk_fma_f32 v[42:43], v[8:9], s[12:13], v[6:7] neg_lo:[0,0,1] neg_hi:[0,0,1]
	v_pk_mul_f32 v[6:7], v[18:19], s[22:23] op_sel:[1,0]
	s_mov_b32 s22, 0x3f0a6770
	v_pk_fma_f32 v[44:45], v[8:9], s[20:21], v[6:7] op_sel:[1,0,0]
	s_mov_b32 s23, s2
	v_add_f32_e32 v21, v21, v50
	v_add_f32_e32 v11, v43, v11
	;; [unrolled: 1-line block ×4, first 2 shown]
	v_pk_fma_f32 v[6:7], v[8:9], s[20:21], v[6:7] op_sel:[1,0,0] neg_lo:[0,0,1] neg_hi:[0,0,1]
	s_mov_b32 s20, s6
	s_mov_b32 s21, s0
	v_pk_mul_f32 v[44:45], v[18:19], s[22:23] op_sel_hi:[0,1]
	v_pk_add_f32 v[6:7], v[6:7], v[48:49]
	v_pk_fma_f32 v[46:47], v[8:9], s[20:21], v[44:45] op_sel_hi:[0,1,1]
	v_pk_fma_f32 v[44:45], v[8:9], s[20:21], v[44:45] op_sel_hi:[0,1,1] neg_lo:[0,0,1] neg_hi:[0,0,1]
	v_add_f32_e32 v48, v20, v21
	s_mov_b32 s21, s1
	v_pk_mul_f32 v[20:21], v[22:23], s[14:15] op_sel_hi:[0,1]
	v_add_f32_e32 v46, v46, v43
	v_add_f32_e32 v11, v42, v11
	v_pk_fma_f32 v[42:43], v[12:13], s[20:21], v[20:21] op_sel_hi:[0,1,1]
	s_mov_b32 s14, s10
	s_mov_b32 s15, s22
	v_add_f32_e32 v22, v2, v42
	v_add_f32_e32 v49, v2, v43
	v_pk_fma_f32 v[20:21], v[12:13], s[20:21], v[20:21] op_sel_hi:[0,1,1] neg_lo:[0,0,1] neg_hi:[0,0,1]
	s_mov_b32 s13, s6
	v_pk_mul_f32 v[42:43], v[40:41], s[14:15] op_sel:[1,0]
	s_mov_b32 s20, s11
	s_mov_b32 s21, s2
	v_pk_add_f32 v[6:7], v[44:45], v[6:7]
	v_pk_add_f32 v[20:21], v[2:3], v[20:21] op_sel_hi:[0,1]
	v_pk_fma_f32 v[44:45], v[38:39], s[12:13], v[42:43] op_sel:[1,0,0]
	v_pk_fma_f32 v[42:43], v[38:39], s[12:13], v[42:43] op_sel:[1,0,0] neg_lo:[0,0,1] neg_hi:[0,0,1]
	s_mov_b32 s14, s7
	s_mov_b32 s15, s0
	v_pk_mul_f32 v[40:41], v[40:41], s[20:21] op_sel_hi:[0,1]
	v_pk_add_f32 v[20:21], v[42:43], v[20:21]
	v_pk_fma_f32 v[42:43], v[38:39], s[14:15], v[40:41] op_sel_hi:[0,1,1]
	v_pk_fma_f32 v[38:39], v[38:39], s[14:15], v[40:41] op_sel_hi:[0,1,1] neg_lo:[0,0,1] neg_hi:[0,0,1]
	s_mov_b32 s3, s17
	v_pk_add_f32 v[20:21], v[38:39], v[20:21]
	s_mov_b32 s14, s0
	s_mov_b32 s15, s12
	v_pk_mul_f32 v[38:39], v[18:19], s[2:3] op_sel:[1,0]
	s_mov_b32 s10, s19
	v_add_f32_e32 v2, v44, v22
	v_pk_fma_f32 v[40:41], v[8:9], s[14:15], v[38:39] op_sel:[1,0,0]
	v_pk_fma_f32 v[38:39], v[8:9], s[14:15], v[38:39] op_sel:[1,0,0] neg_lo:[0,0,1] neg_hi:[0,0,1]
	s_mov_b32 s6, s1
	v_pk_mul_f32 v[18:19], v[18:19], s[10:11] op_sel_hi:[0,1]
	v_add_f32_e32 v12, v45, v49
	v_add_f32_e32 v2, v42, v2
	v_pk_add_f32 v[20:21], v[38:39], v[20:21]
	v_pk_fma_f32 v[38:39], v[8:9], s[6:7], v[18:19] op_sel_hi:[0,1,1]
	v_pk_fma_f32 v[8:9], v[8:9], s[6:7], v[18:19] op_sel_hi:[0,1,1] neg_lo:[0,0,1] neg_hi:[0,0,1]
	s_movk_i32 s0, 0x23c
	v_mov_b32_e32 v19, 2
	v_add_f32_e32 v12, v43, v12
	v_add_f32_e32 v2, v40, v2
	v_mad_u32_u24 v18, v64, s0, 0
	v_lshlrev_b32_sdwa v19, v19, v65 dst_sel:DWORD dst_unused:UNUSED_PAD src0_sel:DWORD src1_sel:BYTE_0
	v_add_f32_e32 v12, v41, v12
	v_add_f32_e32 v2, v38, v2
	v_add3_u32 v38, v18, v19, v71
	v_add_f32_e32 v47, v47, v50
	v_add_f32_e32 v12, v39, v12
	v_pk_add_f32 v[8:9], v[8:9], v[20:21]
	ds_write2_b32 v38, v52, v2 offset1:13
	ds_write2_b32 v38, v46, v47 offset0:26 offset1:39
	ds_write2_b32 v38, v48, v12 offset0:52 offset1:65
	;; [unrolled: 1-line block ×4, first 2 shown]
	ds_write_b32 v38, v8 offset:520
	v_add_u32_e32 v2, 0x600, v68
	s_waitcnt lgkmcnt(0)
	s_barrier
	ds_read2_b32 v[18:19], v10 offset0:15 offset1:158
	ds_read2_b32 v[20:21], v2 offset0:45 offset1:188
	ds_read_b32 v12, v69
	ds_read_b32 v22, v68 offset:2860
	s_movk_i32 s0, 0x41
	v_cmp_gt_u32_e64 s[0:1], s0, v70
	v_cmp_lt_u32_e64 s[2:3], 64, v70
	s_and_saveexec_b64 s[6:7], s[2:3]
	s_xor_b64 s[6:7], exec, s[6:7]
	s_andn2_saveexec_b64 s[6:7], s[6:7]
	s_cbranch_execz .LBB0_16
; %bb.15:
	v_add_u32_e32 v2, 0xa00, v68
	ds_read2_b32 v[10:11], v68 offset0:78 offset1:221
	v_add_u32_e32 v6, 0x400, v68
	ds_read2_b32 v[2:3], v2 offset0:10 offset1:153
	ds_read2_b32 v[40:41], v6 offset0:108 offset1:251
	s_waitcnt lgkmcnt(2)
	v_mov_b32_e32 v9, v10
	s_waitcnt lgkmcnt(1)
	v_mov_b32_e32 v8, v2
	;; [unrolled: 2-line block ×3, first 2 shown]
	v_mov_b32_e32 v7, v40
.LBB0_16:
	s_or_b64 exec, exec, s[6:7]
	v_add_f32_e32 v39, v14, v23
	v_add_f32_e32 v2, v23, v5
	;; [unrolled: 1-line block ×3, first 2 shown]
	v_sub_f32_e32 v10, v13, v15
	v_mul_f32_e32 v13, 0xbf27a4f4, v2
	v_add_f32_e32 v23, v23, v34
	v_pk_add_f32 v[34:35], v[34:35], v[16:17]
	v_fmamk_f32 v15, v10, 0x3f4178ce, v13
	v_fmac_f32_e32 v13, 0xbf4178ce, v10
	v_pk_add_f32 v[28:29], v[32:33], v[28:29] neg_lo:[0,1] neg_hi:[0,1]
	v_mul_f32_e32 v32, 0xbe11bafb, v35
	v_add_f32_e32 v13, v14, v13
	v_fmamk_f32 v33, v29, 0xbf7d64f0, v32
	v_fmac_f32_e32 v32, 0x3f7d64f0, v29
	v_add_f32_e32 v23, v23, v27
	v_add_f32_e32 v15, v14, v15
	v_add_f32_e32 v13, v32, v13
	v_mul_f32_e32 v32, 0x3f575c64, v34
	v_add_f32_e32 v23, v23, v26
	s_mov_b32 s15, 0xbe11bafb
	v_add_f32_e32 v15, v33, v15
	v_fmamk_f32 v33, v28, 0x3f0a6770, v32
	v_fmac_f32_e32 v32, 0xbf0a6770, v28
	s_mov_b32 s14, 0x3ed4b147
	v_add_f32_e32 v23, v23, v36
	s_mov_b32 s6, 0xbf27a4f4
	s_mov_b32 s13, 0xbf7d64f0
	v_add_f32_e32 v15, v33, v15
	v_add_f32_e32 v13, v32, v13
	v_pk_mul_f32 v[32:33], v[2:3], s[14:15] op_sel_hi:[0,1]
	s_mov_b32 s12, 0xbf68dda4
	v_add_f32_e32 v23, v23, v37
	s_mov_b32 s7, 0xbf75a155
	v_pk_fma_f32 v[40:41], v[10:11], s[12:13], v[32:33] op_sel_hi:[0,1,1] neg_lo:[1,0,0] neg_hi:[1,0,0]
	v_add_f32_e32 v16, v23, v16
	s_mov_b32 s10, 0xbf4178ce
	v_add_f32_e32 v39, v14, v40
	v_add_f32_e32 v44, v14, v41
	v_pk_fma_f32 v[32:33], v[10:11], s[12:13], v[32:33] op_sel_hi:[0,1,1]
	v_pk_mul_f32 v[40:41], v[34:35], s[6:7] op_sel:[1,0]
	s_mov_b32 s11, 0x3e903f40
	v_add_f32_e32 v16, v16, v17
	v_pk_add_f32 v[26:27], v[26:27], v[36:37]
	v_pk_add_f32 v[32:33], v[14:15], v[32:33] op_sel_hi:[0,1]
	v_pk_fma_f32 v[42:43], v[28:29], s[10:11], v[40:41] op_sel:[1,0,0] neg_lo:[1,0,0] neg_hi:[1,0,0]
	v_pk_fma_f32 v[40:41], v[28:29], s[10:11], v[40:41] op_sel:[1,0,0]
	s_mov_b32 s22, s7
	s_mov_b32 s23, s14
	v_add_f32_e32 v23, v16, v5
	v_pk_add_f32 v[24:25], v[24:25], v[30:31] neg_lo:[0,1] neg_hi:[0,1]
	v_mul_f32_e32 v5, 0xbf75a155, v27
	s_mov_b32 s20, 0x3f7d64f0
	s_mov_b32 s19, 0x3f575c64
	v_pk_add_f32 v[32:33], v[40:41], v[32:33]
	v_pk_mul_f32 v[40:41], v[34:35], s[22:23] op_sel_hi:[0,1]
	s_mov_b32 s23, 0x3f68dda4
	s_mov_b32 s22, s11
	v_fmamk_f32 v16, v25, 0x3e903f40, v5
	s_mov_b32 s18, s15
	s_mov_b32 s21, 0xbf0a6770
	v_add_f32_e32 v39, v42, v39
	v_add_f32_e32 v44, v43, v44
	v_pk_fma_f32 v[42:43], v[28:29], s[22:23], v[40:41] op_sel_hi:[0,1,1] neg_lo:[1,0,0] neg_hi:[1,0,0]
	v_add_f32_e32 v15, v16, v15
	v_pk_mul_f32 v[16:17], v[26:27], s[18:19] op_sel:[1,0]
	v_add_f32_e32 v39, v42, v39
	v_add_f32_e32 v42, v43, v44
	v_pk_fma_f32 v[40:41], v[28:29], s[22:23], v[40:41] op_sel_hi:[0,1,1]
	v_fmac_f32_e32 v5, 0xbe903f40, v25
	v_pk_fma_f32 v[30:31], v[24:25], s[20:21], v[16:17] op_sel:[1,0,0] neg_lo:[1,0,0] neg_hi:[1,0,0]
	s_mov_b32 s26, s19
	s_mov_b32 s27, s6
	;; [unrolled: 1-line block ×3, first 2 shown]
	v_pk_add_f32 v[32:33], v[40:41], v[32:33]
	v_add_f32_e32 v5, v5, v13
	v_add_f32_e32 v13, v30, v39
	;; [unrolled: 1-line block ×3, first 2 shown]
	v_pk_fma_f32 v[16:17], v[24:25], s[20:21], v[16:17] op_sel:[1,0,0]
	v_pk_mul_f32 v[30:31], v[26:27], s[26:27] op_sel_hi:[0,1]
	s_mov_b32 s17, s10
	v_pk_add_f32 v[16:17], v[16:17], v[32:33]
	v_pk_fma_f32 v[32:33], v[24:25], s[16:17], v[30:31] op_sel_hi:[0,1,1] neg_lo:[1,0,0] neg_hi:[1,0,0]
	v_pk_fma_f32 v[30:31], v[24:25], s[16:17], v[30:31] op_sel_hi:[0,1,1]
	v_pk_add_f32 v[16:17], v[30:31], v[16:17]
	v_mul_f32_e32 v30, 0x3ed4b147, v26
	v_fmamk_f32 v31, v24, 0xbf68dda4, v30
	v_fmac_f32_e32 v30, 0x3f68dda4, v24
	s_mov_b32 s27, s7
	s_mov_b32 s25, 0xbe903f40
	v_add_f32_e32 v37, v31, v15
	v_add_f32_e32 v5, v30, v5
	v_pk_mul_f32 v[30:31], v[2:3], s[26:27] op_sel_hi:[0,1]
	s_mov_b32 s24, s21
	v_add_f32_e32 v13, v32, v13
	v_add_f32_e32 v36, v33, v36
	v_pk_fma_f32 v[32:33], v[10:11], s[24:25], v[30:31] op_sel_hi:[0,1,1] neg_lo:[1,0,0] neg_hi:[1,0,0]
	v_pk_fma_f32 v[30:31], v[10:11], s[24:25], v[30:31] op_sel_hi:[0,1,1]
	s_mov_b32 s18, s14
	v_add_f32_e32 v2, v14, v32
	v_add_f32_e32 v39, v14, v33
	v_pk_add_f32 v[14:15], v[14:15], v[30:31] op_sel_hi:[0,1]
	v_pk_mul_f32 v[30:31], v[34:35], s[18:19] op_sel:[1,0]
	s_mov_b32 s18, s12
	s_mov_b32 s19, s16
	v_pk_fma_f32 v[32:33], v[28:29], s[18:19], v[30:31] op_sel:[1,0,0] neg_lo:[1,0,0] neg_hi:[1,0,0]
	v_pk_fma_f32 v[30:31], v[28:29], s[18:19], v[30:31] op_sel:[1,0,0]
	s_mov_b32 s16, s15
	s_mov_b32 s17, s6
	v_pk_add_f32 v[14:15], v[30:31], v[14:15]
	v_pk_mul_f32 v[30:31], v[34:35], s[16:17] op_sel_hi:[0,1]
	s_mov_b32 s16, s13
	s_mov_b32 s17, s10
	v_add_f32_e32 v2, v32, v2
	v_add_f32_e32 v10, v33, v39
	v_pk_fma_f32 v[32:33], v[28:29], s[16:17], v[30:31] op_sel_hi:[0,1,1] neg_lo:[1,0,0] neg_hi:[1,0,0]
	v_pk_fma_f32 v[28:29], v[28:29], s[16:17], v[30:31] op_sel_hi:[0,1,1]
	s_mov_b32 s16, s6
	s_mov_b32 s17, s14
	v_pk_add_f32 v[14:15], v[28:29], v[14:15]
	v_pk_mul_f32 v[28:29], v[26:27], s[16:17] op_sel:[1,0]
	s_mov_b32 s11, s23
	s_mov_b32 s14, s7
	v_add_f32_e32 v2, v32, v2
	v_pk_fma_f32 v[30:31], v[24:25], s[10:11], v[28:29] op_sel:[1,0,0] neg_lo:[1,0,0] neg_hi:[1,0,0]
	v_pk_fma_f32 v[28:29], v[24:25], s[10:11], v[28:29] op_sel:[1,0,0]
	v_pk_mul_f32 v[26:27], v[26:27], s[14:15] op_sel_hi:[0,1]
	s_mov_b32 s12, s25
	v_add_f32_e32 v10, v33, v10
	v_add_f32_e32 v2, v30, v2
	v_pk_add_f32 v[14:15], v[28:29], v[14:15]
	v_pk_fma_f32 v[28:29], v[24:25], s[12:13], v[26:27] op_sel_hi:[0,1,1] neg_lo:[1,0,0] neg_hi:[1,0,0]
	v_add_f32_e32 v10, v31, v10
	v_add_f32_e32 v2, v28, v2
	v_pk_fma_f32 v[24:25], v[24:25], s[12:13], v[26:27] op_sel_hi:[0,1,1]
	v_add_f32_e32 v10, v29, v10
	v_pk_add_f32 v[14:15], v[24:25], v[14:15]
	s_waitcnt lgkmcnt(0)
	s_barrier
	ds_write2_b32 v38, v23, v2 offset1:13
	ds_write2_b32 v38, v13, v36 offset0:26 offset1:39
	ds_write2_b32 v38, v37, v10 offset0:52 offset1:65
	;; [unrolled: 1-line block ×4, first 2 shown]
	ds_write_b32 v38, v14 offset:520
	v_add_u32_e32 v2, 0x200, v68
	s_waitcnt lgkmcnt(0)
	s_barrier
	ds_read2_b32 v[24:25], v2 offset0:15 offset1:158
	v_add_u32_e32 v2, 0x600, v68
	ds_read2_b32 v[26:27], v2 offset0:45 offset1:188
	ds_read_b32 v13, v69
	ds_read_b32 v2, v68 offset:2860
	s_and_saveexec_b64 s[6:7], s[2:3]
	s_xor_b64 s[2:3], exec, s[6:7]
	s_cbranch_execnz .LBB0_20
; %bb.17:
	s_andn2_saveexec_b64 s[2:3], s[2:3]
	s_cbranch_execnz .LBB0_21
.LBB0_18:
	s_or_b64 exec, exec, s[2:3]
	s_and_saveexec_b64 s[2:3], vcc
	s_cbranch_execnz .LBB0_22
.LBB0_19:
	s_endpgm
.LBB0_20:
                                        ; implicit-def: $vgpr68
	s_andn2_saveexec_b64 s[2:3], s[2:3]
	s_cbranch_execz .LBB0_18
.LBB0_21:
	v_add_u32_e32 v14, 0xa00, v68
	ds_read2_b32 v[4:5], v68 offset0:78 offset1:221
	v_add_u32_e32 v10, 0x400, v68
	ds_read2_b32 v[28:29], v14 offset0:10 offset1:153
	ds_read2_b32 v[30:31], v10 offset0:108 offset1:251
	s_waitcnt lgkmcnt(2)
	v_mov_b32_e32 v15, v4
	s_waitcnt lgkmcnt(1)
	v_mov_b32_e32 v14, v28
	;; [unrolled: 2-line block ×3, first 2 shown]
	v_mov_b32_e32 v17, v30
	v_mov_b32_e32 v4, v29
	s_or_b64 exec, exec, s[2:3]
	s_and_saveexec_b64 s[2:3], vcc
	s_cbranch_execz .LBB0_19
.LBB0_22:
	v_mul_u32_u24_e32 v10, 5, v70
	v_lshlrev_b32_e32 v10, 3, v10
	global_load_dwordx4 v[28:31], v10, s[4:5] offset:1040
	global_load_dwordx4 v[32:35], v10, s[4:5] offset:1056
	global_load_dwordx2 v[36:37], v10, s[4:5] offset:1072
	v_mad_u64_u32 v[38:39], s[2:3], s8, v70, 0
	v_add_u32_e32 v23, 0x8f, v70
	v_add_u32_e32 v41, 0x11e, v70
	;; [unrolled: 1-line block ×5, first 2 shown]
	v_mov_b32_e32 v50, v39
	v_mad_u64_u32 v[52:53], s[6:7], s8, v23, 0
	v_mad_u64_u32 v[54:55], s[6:7], s8, v41, 0
	;; [unrolled: 1-line block ×6, first 2 shown]
	v_mov_b32_e32 v62, v53
	v_mov_b32_e32 v64, v55
	;; [unrolled: 1-line block ×6, first 2 shown]
	v_mad_u64_u32 v[50:51], s[10:11], s9, v23, v[62:63]
	v_mad_u64_u32 v[62:63], s[10:11], s9, v41, v[64:65]
	;; [unrolled: 1-line block ×5, first 2 shown]
	s_waitcnt lgkmcnt(3)
	v_mov_b32_e32 v10, v25
	s_waitcnt lgkmcnt(2)
	v_mov_b32_e32 v44, v27
	v_mov_b32_e32 v53, v50
	v_mov_b32_e32 v55, v62
	v_mov_b32_e32 v57, v64
	v_mov_b32_e32 v59, v66
	v_mov_b32_e32 v61, v68
	v_mov_b32_e32 v40, v19
	v_mov_b32_e32 v42, v19
	v_mov_b32_e32 v46, v21
	v_mov_b32_e32 v48, v21
	v_lshl_add_u64 v[50:51], v[52:53], 3, v[0:1]
	v_lshl_add_u64 v[52:53], v[54:55], 3, v[0:1]
	;; [unrolled: 1-line block ×5, first 2 shown]
	s_mov_b32 s2, -0.5
	s_mov_b32 s3, 0x3f5db3d7
	s_mov_b32 s6, s3
	v_lshl_add_u64 v[38:39], v[38:39], 3, v[0:1]
	s_waitcnt vmcnt(2)
	v_pk_mul_f32 v[60:61], v[10:11], v[30:31] op_sel_hi:[0,1]
	s_waitcnt vmcnt(1)
	v_pk_mul_f32 v[44:45], v[44:45], v[34:35] op_sel_hi:[0,1]
	v_pk_mul_f32 v[26:27], v[26:27], v[32:33] op_sel_hi:[0,1]
	s_waitcnt vmcnt(0) lgkmcnt(0)
	v_pk_mul_f32 v[62:63], v[2:3], v[36:37] op_sel_hi:[0,1]
	v_pk_fma_f32 v[40:41], v[40:41], v[30:31], v[60:61] op_sel:[0,0,1] op_sel_hi:[1,1,0]
	v_pk_fma_f32 v[30:31], v[42:43], v[30:31], v[60:61] op_sel:[0,0,1] op_sel_hi:[0,1,0] neg_lo:[1,0,0] neg_hi:[1,0,0]
	v_pk_fma_f32 v[42:43], v[46:47], v[34:35], v[44:45] op_sel:[0,0,1] op_sel_hi:[1,1,0]
	v_pk_fma_f32 v[34:35], v[48:49], v[34:35], v[44:45] op_sel:[0,0,1] op_sel_hi:[0,1,0] neg_lo:[1,0,0] neg_hi:[1,0,0]
	;; [unrolled: 2-line block ×4, first 2 shown]
	v_pk_mul_f32 v[24:25], v[24:25], v[28:29] op_sel_hi:[0,1]
	v_mov_b32_e32 v41, v31
	v_mov_b32_e32 v43, v35
	;; [unrolled: 1-line block ×4, first 2 shown]
	v_pk_fma_f32 v[32:33], v[18:19], v[28:29], v[24:25] op_sel:[0,0,1] op_sel_hi:[0,1,0]
	v_pk_fma_f32 v[18:19], v[18:19], v[28:29], v[24:25] op_sel:[0,0,1] op_sel_hi:[0,1,0] neg_lo:[1,0,0] neg_hi:[1,0,0]
	v_pk_add_f32 v[20:21], v[40:41], v[42:43]
	v_pk_add_f32 v[22:23], v[40:41], v[42:43] neg_lo:[0,1] neg_hi:[0,1]
	v_pk_add_f32 v[24:25], v[44:45], v[26:27]
	v_pk_fma_f32 v[20:21], -0.5, v[20:21], v[12:13] op_sel_hi:[0,1,1]
	v_pk_mul_f32 v[22:23], v[22:23], s[6:7] op_sel_hi:[1,0]
	v_mov_b32_e32 v33, v19
	v_mov_b32_e32 v18, v32
	v_pk_add_f32 v[30:31], v[44:45], v[26:27] neg_lo:[0,1] neg_hi:[0,1]
	v_fmac_f32_e32 v19, -0.5, v25
	v_pk_add_f32 v[28:29], v[22:23], v[20:21] op_sel:[1,0] op_sel_hi:[0,1]
	v_pk_add_f32 v[20:21], v[20:21], v[22:23] op_sel:[0,1] op_sel_hi:[1,0] neg_lo:[0,1] neg_hi:[0,1]
	v_fmac_f32_e32 v18, -0.5, v24
	v_fmamk_f32 v10, v30, 0xbf5db3d7, v19
	v_fmac_f32_e32 v19, 0x3f5db3d7, v30
	v_mov_b32_e32 v22, v28
	v_mov_b32_e32 v23, v21
	v_fmamk_f32 v2, v31, 0x3f5db3d7, v18
	v_fmac_f32_e32 v18, 0xbf5db3d7, v31
	v_mul_f32_e32 v21, 0.5, v19
	v_mul_f32_e32 v28, 0xbf5db3d7, v19
	s_mov_b32 s6, 0xbf5db3d7
	v_fmac_f32_e32 v21, 0x3f5db3d7, v18
	v_fmac_f32_e32 v28, 0.5, v18
	v_pk_add_f32 v[18:19], v[32:33], v[44:45]
	s_mov_b32 s7, s2
	v_pk_add_f32 v[12:13], v[12:13], v[40:41]
	v_pk_add_f32 v[18:19], v[18:19], v[26:27]
	v_pk_mul_f32 v[26:27], v[10:11], s[6:7] op_sel_hi:[0,1]
	v_pk_add_f32 v[12:13], v[12:13], v[42:43]
	v_pk_fma_f32 v[26:27], v[2:3], s[2:3], v[26:27] op_sel_hi:[0,1,1]
	v_pk_add_f32 v[32:33], v[12:13], v[18:19] neg_lo:[0,1] neg_hi:[0,1]
	v_pk_add_f32 v[12:13], v[12:13], v[18:19]
	v_sub_f32_e32 v25, v29, v21
	v_sub_f32_e32 v24, v20, v28
	v_add_f32_e32 v21, v29, v21
	v_add_f32_e32 v20, v20, v28
	global_store_dwordx2 v[38:39], v[12:13], off
	global_store_dwordx2 v[50:51], v[20:21], off
	v_pk_add_f32 v[12:13], v[22:23], v[26:27]
	v_pk_add_f32 v[30:31], v[22:23], v[26:27] neg_lo:[0,1] neg_hi:[0,1]
	global_store_dwordx2 v[52:53], v[12:13], off
	global_store_dwordx2 v[54:55], v[32:33], off
	;; [unrolled: 1-line block ×4, first 2 shown]
	s_and_b64 exec, exec, s[0:1]
	s_cbranch_execz .LBB0_19
; %bb.23:
	v_add_u32_e32 v29, 0x4e, v70
	v_add_u32_e32 v2, 0xffffffbf, v70
	v_cndmask_b32_e64 v2, v2, v29, s[0:1]
	v_mul_i32_i24_e32 v12, 5, v2
	v_mov_b32_e32 v13, 0
	v_lshl_add_u64 v[12:13], v[12:13], 3, s[4:5]
	global_load_dwordx4 v[18:21], v[12:13], off offset:1040
	global_load_dwordx4 v[22:25], v[12:13], off offset:1056
	global_load_dwordx2 v[26:27], v[12:13], off offset:1072
	v_mov_b32_e32 v12, v3
	v_mov_b32_e32 v28, v3
	v_add_u32_e32 v3, 0xdd, v70
	v_mov_b32_e32 v2, v5
	v_add_u32_e32 v5, 0x16c, v70
	v_mad_u64_u32 v[30:31], s[4:5], s8, v29, 0
	v_mad_u64_u32 v[32:33], s[4:5], s8, v3, 0
	;; [unrolled: 1-line block ×3, first 2 shown]
	v_mov_b32_e32 v36, v31
	v_mov_b32_e32 v38, v33
	;; [unrolled: 1-line block ×3, first 2 shown]
	v_mad_u64_u32 v[36:37], s[4:5], s9, v29, v[36:37]
	v_mad_u64_u32 v[38:39], s[4:5], s9, v3, v[38:39]
	v_mov_b32_e32 v10, v11
	v_mad_u64_u32 v[40:41], s[4:5], s9, v5, v[40:41]
	v_mov_b32_e32 v31, v36
	v_mov_b32_e32 v33, v38
	s_mov_b32 s0, s3
	v_lshl_add_u64 v[30:31], v[30:31], 3, v[0:1]
	v_mov_b32_e32 v35, v40
	v_lshl_add_u64 v[32:33], v[32:33], 3, v[0:1]
	s_waitcnt vmcnt(2)
	v_pk_mul_f32 v[36:37], v[16:17], v[20:21] op_sel:[1,0]
	s_waitcnt vmcnt(1)
	v_pk_mul_f32 v[38:39], v[14:15], v[24:25] op_sel_hi:[0,1]
	v_pk_mul_f32 v[2:3], v[2:3], v[18:19] op_sel_hi:[0,1]
	;; [unrolled: 1-line block ×3, first 2 shown]
	s_waitcnt vmcnt(0)
	v_pk_mul_f32 v[4:5], v[4:5], v[26:27] op_sel_hi:[0,1]
	v_mov_b32_e32 v14, v9
	v_pk_fma_f32 v[42:43], v[6:7], v[20:21], v[36:37] op_sel:[1,0,1] op_sel_hi:[1,1,0]
	v_pk_fma_f32 v[20:21], v[6:7], v[20:21], v[36:37] op_sel:[1,0,1] op_sel_hi:[1,1,0] neg_lo:[1,0,0] neg_hi:[1,0,0]
	v_pk_fma_f32 v[36:37], v[8:9], v[24:25], v[38:39] op_sel:[0,0,1] op_sel_hi:[1,1,0]
	v_pk_fma_f32 v[8:9], v[8:9], v[24:25], v[38:39] op_sel:[0,0,1] op_sel_hi:[0,1,0] neg_lo:[1,0,0] neg_hi:[1,0,0]
	;; [unrolled: 2-line block ×5, first 2 shown]
	v_mov_b32_e32 v43, v21
	v_mov_b32_e32 v37, v9
	;; [unrolled: 1-line block ×5, first 2 shown]
	v_pk_add_f32 v[4:5], v[42:43], v[36:37]
	v_pk_add_f32 v[6:7], v[42:43], v[36:37] neg_lo:[0,1] neg_hi:[0,1]
	v_pk_add_f32 v[8:9], v[10:11], v[12:13]
	v_mov_b32_e32 v2, v24
	v_pk_add_f32 v[16:17], v[10:11], v[12:13] neg_lo:[0,1] neg_hi:[0,1]
	v_pk_add_f32 v[10:11], v[24:25], v[10:11]
	v_pk_add_f32 v[18:19], v[14:15], v[42:43]
	v_pk_fma_f32 v[4:5], -0.5, v[4:5], v[14:15] op_sel_hi:[0,1,1]
	v_pk_mul_f32 v[6:7], v[6:7], s[0:1] op_sel_hi:[1,0]
	v_fmac_f32_e32 v3, -0.5, v9
	v_fmac_f32_e32 v2, -0.5, v8
	v_pk_add_f32 v[10:11], v[10:11], v[12:13]
	v_pk_add_f32 v[8:9], v[18:19], v[36:37]
	v_pk_add_f32 v[12:13], v[4:5], v[6:7] op_sel:[0,1] op_sel_hi:[1,0] neg_lo:[0,1] neg_hi:[0,1]
	v_fmamk_f32 v15, v16, 0x3f5db3d7, v3
	v_fmac_f32_e32 v3, 0xbf5db3d7, v16
	v_pk_add_f32 v[4:5], v[6:7], v[4:5] op_sel:[1,0] op_sel_hi:[0,1]
	v_pk_add_f32 v[6:7], v[8:9], v[10:11]
	v_pk_add_f32 v[8:9], v[8:9], v[10:11] neg_lo:[0,1] neg_hi:[0,1]
	v_mov_b32_e32 v10, v4
	v_mov_b32_e32 v4, v3
	v_fmamk_f32 v14, v17, 0xbf5db3d7, v2
	v_fmac_f32_e32 v2, 0x3f5db3d7, v17
	v_mul_f32_e32 v16, 0xbf5db3d7, v15
	v_mul_f32_e32 v17, 0.5, v15
	global_store_dwordx2 v[30:31], v[6:7], off
	v_pk_mul_f32 v[6:7], v[4:5], s[6:7] op_sel_hi:[0,1]
	v_mov_b32_e32 v11, v13
	v_fmac_f32_e32 v16, 0.5, v14
	v_fmac_f32_e32 v17, 0x3f5db3d7, v14
	v_pk_fma_f32 v[2:3], v[2:3], s[2:3], v[6:7] op_sel_hi:[0,1,1]
	v_add_f32_e32 v14, v12, v16
	v_add_f32_e32 v15, v5, v17
	v_pk_add_f32 v[6:7], v[10:11], v[2:3]
	v_pk_add_f32 v[2:3], v[10:11], v[2:3] neg_lo:[0,1] neg_hi:[0,1]
	v_lshl_add_u64 v[10:11], v[34:35], 3, v[0:1]
	global_store_dwordx2 v[32:33], v[14:15], off
	global_store_dwordx2 v[10:11], v[6:7], off
	v_add_u32_e32 v11, 0x1fb, v70
	v_mad_u64_u32 v[6:7], s[0:1], s8, v11, 0
	v_mov_b32_e32 v10, v7
	v_mad_u64_u32 v[10:11], s[0:1], s9, v11, v[10:11]
	v_mov_b32_e32 v7, v10
	v_lshl_add_u64 v[6:7], v[6:7], 3, v[0:1]
	global_store_dwordx2 v[6:7], v[8:9], off
	v_add_u32_e32 v9, 0x28a, v70
	v_mad_u64_u32 v[6:7], s[0:1], s8, v9, 0
	v_mov_b32_e32 v8, v7
	v_mad_u64_u32 v[8:9], s[0:1], s9, v9, v[8:9]
	v_mov_b32_e32 v7, v8
	v_sub_f32_e32 v4, v12, v16
	v_sub_f32_e32 v5, v5, v17
	v_lshl_add_u64 v[6:7], v[6:7], 3, v[0:1]
	global_store_dwordx2 v[6:7], v[4:5], off
	v_add_u32_e32 v7, 0x319, v70
	v_mad_u64_u32 v[4:5], s[0:1], s8, v7, 0
	v_mov_b32_e32 v6, v5
	v_mad_u64_u32 v[6:7], s[0:1], s9, v7, v[6:7]
	v_mov_b32_e32 v5, v6
	v_lshl_add_u64 v[0:1], v[4:5], 3, v[0:1]
	global_store_dwordx2 v[0:1], v[2:3], off
	s_endpgm
	.section	.rodata,"a",@progbits
	.p2align	6, 0x0
	.amdhsa_kernel fft_rtc_back_len858_factors_13_11_6_wgs_234_tpt_78_halfLds_sp_ip_CI_sbrr_dirReg
		.amdhsa_group_segment_fixed_size 0
		.amdhsa_private_segment_fixed_size 0
		.amdhsa_kernarg_size 88
		.amdhsa_user_sgpr_count 2
		.amdhsa_user_sgpr_dispatch_ptr 0
		.amdhsa_user_sgpr_queue_ptr 0
		.amdhsa_user_sgpr_kernarg_segment_ptr 1
		.amdhsa_user_sgpr_dispatch_id 0
		.amdhsa_user_sgpr_kernarg_preload_length 0
		.amdhsa_user_sgpr_kernarg_preload_offset 0
		.amdhsa_user_sgpr_private_segment_size 0
		.amdhsa_uses_dynamic_stack 0
		.amdhsa_enable_private_segment 0
		.amdhsa_system_sgpr_workgroup_id_x 1
		.amdhsa_system_sgpr_workgroup_id_y 0
		.amdhsa_system_sgpr_workgroup_id_z 0
		.amdhsa_system_sgpr_workgroup_info 0
		.amdhsa_system_vgpr_workitem_id 0
		.amdhsa_next_free_vgpr 106
		.amdhsa_next_free_sgpr 38
		.amdhsa_accum_offset 108
		.amdhsa_reserve_vcc 1
		.amdhsa_float_round_mode_32 0
		.amdhsa_float_round_mode_16_64 0
		.amdhsa_float_denorm_mode_32 3
		.amdhsa_float_denorm_mode_16_64 3
		.amdhsa_dx10_clamp 1
		.amdhsa_ieee_mode 1
		.amdhsa_fp16_overflow 0
		.amdhsa_tg_split 0
		.amdhsa_exception_fp_ieee_invalid_op 0
		.amdhsa_exception_fp_denorm_src 0
		.amdhsa_exception_fp_ieee_div_zero 0
		.amdhsa_exception_fp_ieee_overflow 0
		.amdhsa_exception_fp_ieee_underflow 0
		.amdhsa_exception_fp_ieee_inexact 0
		.amdhsa_exception_int_div_zero 0
	.end_amdhsa_kernel
	.text
.Lfunc_end0:
	.size	fft_rtc_back_len858_factors_13_11_6_wgs_234_tpt_78_halfLds_sp_ip_CI_sbrr_dirReg, .Lfunc_end0-fft_rtc_back_len858_factors_13_11_6_wgs_234_tpt_78_halfLds_sp_ip_CI_sbrr_dirReg
                                        ; -- End function
	.section	.AMDGPU.csdata,"",@progbits
; Kernel info:
; codeLenInByte = 9424
; NumSgprs: 44
; NumVgprs: 106
; NumAgprs: 0
; TotalNumVgprs: 106
; ScratchSize: 0
; MemoryBound: 0
; FloatMode: 240
; IeeeMode: 1
; LDSByteSize: 0 bytes/workgroup (compile time only)
; SGPRBlocks: 5
; VGPRBlocks: 13
; NumSGPRsForWavesPerEU: 44
; NumVGPRsForWavesPerEU: 106
; AccumOffset: 108
; Occupancy: 4
; WaveLimiterHint : 1
; COMPUTE_PGM_RSRC2:SCRATCH_EN: 0
; COMPUTE_PGM_RSRC2:USER_SGPR: 2
; COMPUTE_PGM_RSRC2:TRAP_HANDLER: 0
; COMPUTE_PGM_RSRC2:TGID_X_EN: 1
; COMPUTE_PGM_RSRC2:TGID_Y_EN: 0
; COMPUTE_PGM_RSRC2:TGID_Z_EN: 0
; COMPUTE_PGM_RSRC2:TIDIG_COMP_CNT: 0
; COMPUTE_PGM_RSRC3_GFX90A:ACCUM_OFFSET: 26
; COMPUTE_PGM_RSRC3_GFX90A:TG_SPLIT: 0
	.text
	.p2alignl 6, 3212836864
	.fill 256, 4, 3212836864
	.type	__hip_cuid_344c040599d31b46,@object ; @__hip_cuid_344c040599d31b46
	.section	.bss,"aw",@nobits
	.globl	__hip_cuid_344c040599d31b46
__hip_cuid_344c040599d31b46:
	.byte	0                               ; 0x0
	.size	__hip_cuid_344c040599d31b46, 1

	.ident	"AMD clang version 19.0.0git (https://github.com/RadeonOpenCompute/llvm-project roc-6.4.0 25133 c7fe45cf4b819c5991fe208aaa96edf142730f1d)"
	.section	".note.GNU-stack","",@progbits
	.addrsig
	.addrsig_sym __hip_cuid_344c040599d31b46
	.amdgpu_metadata
---
amdhsa.kernels:
  - .agpr_count:     0
    .args:
      - .actual_access:  read_only
        .address_space:  global
        .offset:         0
        .size:           8
        .value_kind:     global_buffer
      - .offset:         8
        .size:           8
        .value_kind:     by_value
      - .actual_access:  read_only
        .address_space:  global
        .offset:         16
        .size:           8
        .value_kind:     global_buffer
      - .actual_access:  read_only
        .address_space:  global
        .offset:         24
        .size:           8
        .value_kind:     global_buffer
      - .offset:         32
        .size:           8
        .value_kind:     by_value
      - .actual_access:  read_only
        .address_space:  global
        .offset:         40
        .size:           8
        .value_kind:     global_buffer
      - .actual_access:  read_only
        .address_space:  global
        .offset:         48
        .size:           8
        .value_kind:     global_buffer
      - .offset:         56
        .size:           4
        .value_kind:     by_value
      - .actual_access:  read_only
        .address_space:  global
        .offset:         64
        .size:           8
        .value_kind:     global_buffer
      - .actual_access:  read_only
        .address_space:  global
        .offset:         72
        .size:           8
        .value_kind:     global_buffer
      - .address_space:  global
        .offset:         80
        .size:           8
        .value_kind:     global_buffer
    .group_segment_fixed_size: 0
    .kernarg_segment_align: 8
    .kernarg_segment_size: 88
    .language:       OpenCL C
    .language_version:
      - 2
      - 0
    .max_flat_workgroup_size: 234
    .name:           fft_rtc_back_len858_factors_13_11_6_wgs_234_tpt_78_halfLds_sp_ip_CI_sbrr_dirReg
    .private_segment_fixed_size: 0
    .sgpr_count:     44
    .sgpr_spill_count: 0
    .symbol:         fft_rtc_back_len858_factors_13_11_6_wgs_234_tpt_78_halfLds_sp_ip_CI_sbrr_dirReg.kd
    .uniform_work_group_size: 1
    .uses_dynamic_stack: false
    .vgpr_count:     106
    .vgpr_spill_count: 0
    .wavefront_size: 64
amdhsa.target:   amdgcn-amd-amdhsa--gfx950
amdhsa.version:
  - 1
  - 2
...

	.end_amdgpu_metadata
